;; amdgpu-corpus repo=ROCm/rocFFT kind=compiled arch=gfx950 opt=O3
	.text
	.amdgcn_target "amdgcn-amd-amdhsa--gfx950"
	.amdhsa_code_object_version 6
	.protected	fft_rtc_fwd_len3750_factors_3_5_5_10_5_wgs_125_tpt_125_halfLds_dp_ip_CI_unitstride_sbrr_dirReg ; -- Begin function fft_rtc_fwd_len3750_factors_3_5_5_10_5_wgs_125_tpt_125_halfLds_dp_ip_CI_unitstride_sbrr_dirReg
	.globl	fft_rtc_fwd_len3750_factors_3_5_5_10_5_wgs_125_tpt_125_halfLds_dp_ip_CI_unitstride_sbrr_dirReg
	.p2align	8
	.type	fft_rtc_fwd_len3750_factors_3_5_5_10_5_wgs_125_tpt_125_halfLds_dp_ip_CI_unitstride_sbrr_dirReg,@function
fft_rtc_fwd_len3750_factors_3_5_5_10_5_wgs_125_tpt_125_halfLds_dp_ip_CI_unitstride_sbrr_dirReg: ; @fft_rtc_fwd_len3750_factors_3_5_5_10_5_wgs_125_tpt_125_halfLds_dp_ip_CI_unitstride_sbrr_dirReg
; %bb.0:
	s_load_dwordx2 s[8:9], s[0:1], 0x50
	s_load_dwordx4 s[4:7], s[0:1], 0x0
	s_load_dwordx2 s[10:11], s[0:1], 0x18
	v_mul_u32_u24_e32 v1, 0x20d, v0
	v_add_u32_sdwa v6, s2, v1 dst_sel:DWORD dst_unused:UNUSED_PAD src0_sel:DWORD src1_sel:WORD_1
	v_mov_b32_e32 v4, 0
	s_waitcnt lgkmcnt(0)
	v_cmp_lt_u64_e64 s[2:3], s[6:7], 2
	v_mov_b32_e32 v7, v4
	s_and_b64 vcc, exec, s[2:3]
	v_mov_b64_e32 v[2:3], 0
	s_cbranch_vccnz .LBB0_8
; %bb.1:
	s_load_dwordx2 s[2:3], s[0:1], 0x10
	s_add_u32 s12, s10, 8
	s_addc_u32 s13, s11, 0
	s_mov_b64 s[14:15], 1
	v_mov_b64_e32 v[2:3], 0
	s_waitcnt lgkmcnt(0)
	s_add_u32 s16, s2, 8
	s_addc_u32 s17, s3, 0
.LBB0_2:                                ; =>This Inner Loop Header: Depth=1
	s_load_dwordx2 s[18:19], s[16:17], 0x0
                                        ; implicit-def: $vgpr8_vgpr9
	s_waitcnt lgkmcnt(0)
	v_or_b32_e32 v5, s19, v7
	v_cmp_ne_u64_e32 vcc, 0, v[4:5]
	s_and_saveexec_b64 s[2:3], vcc
	s_xor_b64 s[20:21], exec, s[2:3]
	s_cbranch_execz .LBB0_4
; %bb.3:                                ;   in Loop: Header=BB0_2 Depth=1
	v_cvt_f32_u32_e32 v1, s18
	v_cvt_f32_u32_e32 v5, s19
	s_sub_u32 s2, 0, s18
	s_subb_u32 s3, 0, s19
	v_fmac_f32_e32 v1, 0x4f800000, v5
	v_rcp_f32_e32 v1, v1
	s_nop 0
	v_mul_f32_e32 v1, 0x5f7ffffc, v1
	v_mul_f32_e32 v5, 0x2f800000, v1
	v_trunc_f32_e32 v5, v5
	v_fmac_f32_e32 v1, 0xcf800000, v5
	v_cvt_u32_f32_e32 v5, v5
	v_cvt_u32_f32_e32 v1, v1
	v_mul_lo_u32 v8, s2, v5
	v_mul_hi_u32 v10, s2, v1
	v_mul_lo_u32 v9, s3, v1
	v_add_u32_e32 v10, v10, v8
	v_mul_lo_u32 v12, s2, v1
	v_add_u32_e32 v13, v10, v9
	v_mul_hi_u32 v8, v1, v12
	v_mul_hi_u32 v11, v1, v13
	v_mul_lo_u32 v10, v1, v13
	v_mov_b32_e32 v9, v4
	v_lshl_add_u64 v[8:9], v[8:9], 0, v[10:11]
	v_mul_hi_u32 v11, v5, v12
	v_mul_lo_u32 v12, v5, v12
	v_add_co_u32_e32 v8, vcc, v8, v12
	v_mul_hi_u32 v10, v5, v13
	s_nop 0
	v_addc_co_u32_e32 v8, vcc, v9, v11, vcc
	v_mov_b32_e32 v9, v4
	s_nop 0
	v_addc_co_u32_e32 v11, vcc, 0, v10, vcc
	v_mul_lo_u32 v10, v5, v13
	v_lshl_add_u64 v[8:9], v[8:9], 0, v[10:11]
	v_add_co_u32_e32 v1, vcc, v1, v8
	v_mul_lo_u32 v10, s2, v1
	s_nop 0
	v_addc_co_u32_e32 v5, vcc, v5, v9, vcc
	v_mul_lo_u32 v8, s2, v5
	v_mul_hi_u32 v9, s2, v1
	v_add_u32_e32 v8, v9, v8
	v_mul_lo_u32 v9, s3, v1
	v_add_u32_e32 v12, v8, v9
	v_mul_hi_u32 v14, v5, v10
	v_mul_lo_u32 v15, v5, v10
	v_mul_hi_u32 v9, v1, v12
	v_mul_lo_u32 v8, v1, v12
	v_mul_hi_u32 v10, v1, v10
	v_mov_b32_e32 v11, v4
	v_lshl_add_u64 v[8:9], v[10:11], 0, v[8:9]
	v_add_co_u32_e32 v8, vcc, v8, v15
	v_mul_hi_u32 v13, v5, v12
	s_nop 0
	v_addc_co_u32_e32 v8, vcc, v9, v14, vcc
	v_mul_lo_u32 v10, v5, v12
	s_nop 0
	v_addc_co_u32_e32 v11, vcc, 0, v13, vcc
	v_mov_b32_e32 v9, v4
	v_lshl_add_u64 v[8:9], v[8:9], 0, v[10:11]
	v_add_co_u32_e32 v1, vcc, v1, v8
	v_mul_hi_u32 v10, v6, v1
	s_nop 0
	v_addc_co_u32_e32 v5, vcc, v5, v9, vcc
	v_mad_u64_u32 v[8:9], s[2:3], v6, v5, 0
	v_mov_b32_e32 v11, v4
	v_lshl_add_u64 v[8:9], v[10:11], 0, v[8:9]
	v_mad_u64_u32 v[12:13], s[2:3], v7, v1, 0
	v_add_co_u32_e32 v1, vcc, v8, v12
	v_mad_u64_u32 v[10:11], s[2:3], v7, v5, 0
	s_nop 0
	v_addc_co_u32_e32 v8, vcc, v9, v13, vcc
	v_mov_b32_e32 v9, v4
	s_nop 0
	v_addc_co_u32_e32 v11, vcc, 0, v11, vcc
	v_lshl_add_u64 v[8:9], v[8:9], 0, v[10:11]
	v_mul_lo_u32 v1, s19, v8
	v_mul_lo_u32 v5, s18, v9
	v_mad_u64_u32 v[10:11], s[2:3], s18, v8, 0
	v_add3_u32 v1, v11, v5, v1
	v_sub_u32_e32 v5, v7, v1
	v_mov_b32_e32 v11, s19
	v_sub_co_u32_e32 v14, vcc, v6, v10
	v_lshl_add_u64 v[12:13], v[8:9], 0, 1
	s_nop 0
	v_subb_co_u32_e64 v5, s[2:3], v5, v11, vcc
	v_subrev_co_u32_e64 v10, s[2:3], s18, v14
	v_subb_co_u32_e32 v1, vcc, v7, v1, vcc
	s_nop 0
	v_subbrev_co_u32_e64 v5, s[2:3], 0, v5, s[2:3]
	v_cmp_le_u32_e64 s[2:3], s19, v5
	v_cmp_le_u32_e32 vcc, s19, v1
	s_nop 0
	v_cndmask_b32_e64 v11, 0, -1, s[2:3]
	v_cmp_le_u32_e64 s[2:3], s18, v10
	s_nop 1
	v_cndmask_b32_e64 v10, 0, -1, s[2:3]
	v_cmp_eq_u32_e64 s[2:3], s19, v5
	s_nop 1
	v_cndmask_b32_e64 v5, v11, v10, s[2:3]
	v_lshl_add_u64 v[10:11], v[8:9], 0, 2
	v_cmp_ne_u32_e64 s[2:3], 0, v5
	s_nop 1
	v_cndmask_b32_e64 v5, v13, v11, s[2:3]
	v_cndmask_b32_e64 v11, 0, -1, vcc
	v_cmp_le_u32_e32 vcc, s18, v14
	s_nop 1
	v_cndmask_b32_e64 v13, 0, -1, vcc
	v_cmp_eq_u32_e32 vcc, s19, v1
	s_nop 1
	v_cndmask_b32_e32 v1, v11, v13, vcc
	v_cmp_ne_u32_e32 vcc, 0, v1
	v_cndmask_b32_e64 v1, v12, v10, s[2:3]
	s_nop 0
	v_cndmask_b32_e32 v9, v9, v5, vcc
	v_cndmask_b32_e32 v8, v8, v1, vcc
.LBB0_4:                                ;   in Loop: Header=BB0_2 Depth=1
	s_andn2_saveexec_b64 s[2:3], s[20:21]
	s_cbranch_execz .LBB0_6
; %bb.5:                                ;   in Loop: Header=BB0_2 Depth=1
	v_cvt_f32_u32_e32 v1, s18
	s_sub_i32 s20, 0, s18
	v_rcp_iflag_f32_e32 v1, v1
	s_nop 0
	v_mul_f32_e32 v1, 0x4f7ffffe, v1
	v_cvt_u32_f32_e32 v1, v1
	v_mul_lo_u32 v5, s20, v1
	v_mul_hi_u32 v5, v1, v5
	v_add_u32_e32 v1, v1, v5
	v_mul_hi_u32 v1, v6, v1
	v_mul_lo_u32 v5, v1, s18
	v_sub_u32_e32 v5, v6, v5
	v_add_u32_e32 v8, 1, v1
	v_subrev_u32_e32 v9, s18, v5
	v_cmp_le_u32_e32 vcc, s18, v5
	s_nop 1
	v_cndmask_b32_e32 v5, v5, v9, vcc
	v_cndmask_b32_e32 v1, v1, v8, vcc
	v_add_u32_e32 v8, 1, v1
	v_cmp_le_u32_e32 vcc, s18, v5
	v_mov_b32_e32 v9, v4
	s_nop 0
	v_cndmask_b32_e32 v8, v1, v8, vcc
.LBB0_6:                                ;   in Loop: Header=BB0_2 Depth=1
	s_or_b64 exec, exec, s[2:3]
	v_mad_u64_u32 v[10:11], s[2:3], v8, s18, 0
	s_load_dwordx2 s[2:3], s[12:13], 0x0
	v_mul_lo_u32 v1, v9, s18
	v_mul_lo_u32 v5, v8, s19
	v_add3_u32 v1, v11, v5, v1
	v_sub_co_u32_e32 v5, vcc, v6, v10
	s_add_u32 s14, s14, 1
	s_nop 0
	v_subb_co_u32_e32 v1, vcc, v7, v1, vcc
	s_addc_u32 s15, s15, 0
	s_waitcnt lgkmcnt(0)
	v_mul_lo_u32 v1, s2, v1
	v_mul_lo_u32 v6, s3, v5
	v_mad_u64_u32 v[2:3], s[2:3], s2, v5, v[2:3]
	s_add_u32 s12, s12, 8
	v_add3_u32 v3, v6, v3, v1
	s_addc_u32 s13, s13, 0
	v_mov_b64_e32 v[6:7], s[6:7]
	s_add_u32 s16, s16, 8
	v_cmp_ge_u64_e32 vcc, s[14:15], v[6:7]
	s_addc_u32 s17, s17, 0
	s_cbranch_vccnz .LBB0_9
; %bb.7:                                ;   in Loop: Header=BB0_2 Depth=1
	v_mov_b64_e32 v[6:7], v[8:9]
	s_branch .LBB0_2
.LBB0_8:
	v_mov_b64_e32 v[8:9], v[6:7]
.LBB0_9:
	s_lshl_b64 s[2:3], s[6:7], 3
	s_add_u32 s2, s10, s2
	s_addc_u32 s3, s11, s3
	s_load_dwordx2 s[6:7], s[2:3], 0x0
	s_load_dwordx2 s[10:11], s[0:1], 0x20
	s_mov_b32 s2, 0x20c49bb
                                        ; implicit-def: $vgpr120_vgpr121
                                        ; implicit-def: $vgpr108_vgpr109
                                        ; implicit-def: $vgpr88_vgpr89
                                        ; implicit-def: $vgpr132_vgpr133
                                        ; implicit-def: $vgpr136_vgpr137
                                        ; implicit-def: $vgpr92_vgpr93
                                        ; implicit-def: $vgpr148_vgpr149
                                        ; implicit-def: $vgpr116_vgpr117
                                        ; implicit-def: $vgpr96_vgpr97
                                        ; implicit-def: $vgpr124_vgpr125
                                        ; implicit-def: $vgpr128_vgpr129
                                        ; implicit-def: $vgpr100_vgpr101
                                        ; implicit-def: $vgpr140_vgpr141
                                        ; implicit-def: $vgpr144_vgpr145
                                        ; implicit-def: $vgpr56_vgpr57
                                        ; implicit-def: $vgpr84_vgpr85
                                        ; implicit-def: $vgpr80_vgpr81
                                        ; implicit-def: $vgpr60_vgpr61
                                        ; implicit-def: $vgpr76_vgpr77
                                        ; implicit-def: $vgpr72_vgpr73
                                        ; implicit-def: $vgpr52_vgpr53
                                        ; implicit-def: $vgpr68_vgpr69
                                        ; implicit-def: $vgpr64_vgpr65
                                        ; implicit-def: $vgpr104_vgpr105
                                        ; implicit-def: $vgpr6_vgpr7
                                        ; implicit-def: $vgpr112_vgpr113
                                        ; implicit-def: $vgpr156_vgpr157
                                        ; implicit-def: $vgpr160_vgpr161
                                        ; implicit-def: $vgpr152_vgpr153
	s_waitcnt lgkmcnt(0)
	v_mul_lo_u32 v1, s6, v9
	v_mul_lo_u32 v4, s7, v8
	v_mad_u64_u32 v[2:3], s[0:1], s6, v8, v[2:3]
	v_add3_u32 v3, v4, v3, v1
	v_mul_hi_u32 v1, v0, s2
	v_mul_u32_u24_e32 v1, 0x7d, v1
	v_sub_u32_e32 v164, v0, v1
	v_lshl_add_u64 v[0:1], v[2:3], 4, s[8:9]
	v_accvgpr_write_b32 a0, v0
	v_cmp_gt_u64_e64 s[0:1], s[10:11], v[8:9]
	v_accvgpr_write_b32 a1, v1
                                        ; implicit-def: $vgpr8_vgpr9
                                        ; implicit-def: $vgpr2_vgpr3
	s_and_saveexec_b64 s[2:3], s[0:1]
	s_cbranch_execz .LBB0_11
; %bb.10:
	v_accvgpr_read_b32 v0, a0
	v_mov_b32_e32 v165, 0
	v_accvgpr_read_b32 v1, a1
	v_lshl_add_u64 v[8:9], v[164:165], 4, v[0:1]
	v_add_co_u32_e32 v10, vcc, 0x4000, v8
	s_movk_i32 s6, 0x5000
	s_nop 0
	v_addc_co_u32_e32 v11, vcc, 0, v9, vcc
	v_add_co_u32_e32 v12, vcc, 0x9000, v8
	s_nop 1
	v_addc_co_u32_e32 v13, vcc, 0, v9, vcc
	v_add_co_u32_e32 v14, vcc, s6, v8
	s_mov_b32 s6, 0xa000
	s_nop 0
	v_addc_co_u32_e32 v15, vcc, 0, v9, vcc
	v_add_co_u32_e32 v4, vcc, s6, v8
	s_movk_i32 s6, 0x1000
	s_nop 0
	v_addc_co_u32_e32 v5, vcc, 0, v9, vcc
	v_add_co_u32_e32 v6, vcc, s6, v8
	s_movk_i32 s6, 0x6000
	s_nop 0
	v_addc_co_u32_e32 v7, vcc, 0, v9, vcc
	global_load_dwordx4 v[0:3], v[4:5], off offset:1040
	global_load_dwordx4 v[62:65], v[14:15], off offset:3520
	;; [unrolled: 1-line block ×4, first 2 shown]
	v_add_co_u32_e32 v4, vcc, s6, v8
	s_mov_b32 s6, 0xb000
	s_nop 0
	v_addc_co_u32_e32 v5, vcc, 0, v9, vcc
	v_add_co_u32_e32 v16, vcc, s6, v8
	s_movk_i32 s6, 0x2000
	s_nop 0
	v_addc_co_u32_e32 v17, vcc, 0, v9, vcc
	global_load_dwordx4 v[70:73], v[4:5], off offset:1424
	global_load_dwordx4 v[58:61], v[6:7], off offset:3904
	;; [unrolled: 1-line block ×4, first 2 shown]
	v_add_co_u32_e32 v18, vcc, s6, v8
	s_movk_i32 s6, 0x7000
	s_nop 0
	v_addc_co_u32_e32 v19, vcc, 0, v9, vcc
	global_load_dwordx4 v[82:85], v[16:17], off offset:2944
	global_load_dwordx4 v[54:57], v[18:19], off offset:1808
	v_add_co_u32_e32 v16, vcc, s6, v8
	s_mov_b32 s6, 0xc000
	s_nop 0
	v_addc_co_u32_e32 v17, vcc, 0, v9, vcc
	v_add_co_u32_e32 v20, vcc, s6, v8
	s_movk_i32 s6, 0x3000
	s_nop 0
	v_addc_co_u32_e32 v21, vcc, 0, v9, vcc
	v_add_co_u32_e32 v22, vcc, s6, v8
	s_mov_b32 s6, 0x8000
	s_nop 0
	v_addc_co_u32_e32 v23, vcc, 0, v9, vcc
	v_add_co_u32_e32 v24, vcc, s6, v8
	s_mov_b32 s6, 0xd000
	s_nop 0
	v_addc_co_u32_e32 v25, vcc, 0, v9, vcc
	v_add_co_u32_e32 v26, vcc, s6, v8
	s_nop 1
	v_addc_co_u32_e32 v27, vcc, 0, v9, vcc
	v_add_co_u32_e32 v28, vcc, 0xe000, v8
	s_nop 1
	v_addc_co_u32_e32 v29, vcc, 0, v9, vcc
	global_load_dwordx4 v[98:101], v[18:19], off offset:3808
	global_load_dwordx4 v[142:145], v[16:17], off offset:1328
	;; [unrolled: 1-line block ×8, first 2 shown]
	global_load_dwordx4 v[150:153], v[8:9], off
	global_load_dwordx4 v[110:113], v[8:9], off offset:2000
	global_load_dwordx4 v[102:105], v[8:9], off offset:4000
	global_load_dwordx4 v[86:89], v[10:11], off offset:1616
	global_load_dwordx4 v[4:7], v[14:15], off offset:1520
	global_load_dwordx4 v[154:157], v[12:13], off offset:3136
	global_load_dwordx4 v[158:161], v[10:11], off offset:3616
                                        ; kill: killed $vgpr8 killed $vgpr9
                                        ; kill: killed $vgpr22 killed $vgpr23
                                        ; kill: killed $vgpr14 killed $vgpr15
                                        ; kill: killed $vgpr20 killed $vgpr21
                                        ; kill: killed $vgpr16 killed $vgpr17
                                        ; kill: killed $vgpr10 killed $vgpr11
                                        ; kill: killed $vgpr18 killed $vgpr19
	global_load_dwordx4 v[106:109], v[12:13], off offset:1136
	global_load_dwordx4 v[134:137], v[24:25], off offset:3232
	;; [unrolled: 1-line block ×4, first 2 shown]
                                        ; kill: killed $vgpr26 killed $vgpr27
                                        ; kill: killed $vgpr24 killed $vgpr25
                                        ; kill: killed $vgpr12 killed $vgpr13
	global_load_dwordx4 v[118:121], v[28:29], off offset:656
	s_waitcnt vmcnt(8)
	v_mov_b64_e32 v[8:9], v[86:87]
.LBB0_11:
	s_or_b64 exec, exec, s[2:3]
	s_waitcnt vmcnt(5)
	v_add_f64 v[10:11], v[154:155], v[158:159]
	s_mov_b32 s2, 0xe8584caa
	v_add_f64 v[20:21], v[158:159], v[150:151]
	v_fmac_f64_e32 v[150:151], -0.5, v[10:11]
	v_add_f64 v[12:13], v[160:161], -v[156:157]
	s_mov_b32 s3, 0x3febb67a
	s_mov_b32 s7, 0xbfebb67a
	;; [unrolled: 1-line block ×3, first 2 shown]
	v_fma_f64 v[10:11], s[2:3], v[12:13], v[150:151]
	v_fmac_f64_e32 v[150:151], s[6:7], v[12:13]
	v_add_f64 v[12:13], v[4:5], v[110:111]
	v_add_f64 v[12:13], v[0:1], v[12:13]
	;; [unrolled: 1-line block ×3, first 2 shown]
	v_add_f64 v[86:87], v[4:5], -v[0:1]
	v_add_f64 v[0:1], v[66:67], v[62:63]
	v_add_f64 v[24:25], v[62:63], v[102:103]
	v_fmac_f64_e32 v[102:103], -0.5, v[0:1]
	v_add_f64 v[0:1], v[64:65], -v[68:69]
	v_fma_f64 v[22:23], s[2:3], v[0:1], v[102:103]
	v_fmac_f64_e32 v[102:103], s[6:7], v[0:1]
	v_add_f64 v[0:1], v[74:75], v[70:71]
	v_add_f64 v[26:27], v[70:71], v[50:51]
	v_fmac_f64_e32 v[50:51], -0.5, v[0:1]
	v_add_f64 v[0:1], v[72:73], -v[76:77]
	v_fmac_f64_e32 v[110:111], -0.5, v[14:15]
	v_add_f64 v[14:15], v[6:7], -v[2:3]
	v_fma_f64 v[16:17], s[2:3], v[0:1], v[50:51]
	v_fmac_f64_e32 v[50:51], s[6:7], v[0:1]
	v_add_f64 v[0:1], v[82:83], v[78:79]
	v_fma_f64 v[18:19], s[2:3], v[14:15], v[110:111]
	v_fmac_f64_e32 v[110:111], s[6:7], v[14:15]
	v_add_f64 v[14:15], v[6:7], v[112:113]
	v_add_f64 v[28:29], v[78:79], v[58:59]
	v_fmac_f64_e32 v[58:59], -0.5, v[0:1]
	v_add_f64 v[0:1], v[80:81], -v[84:85]
	v_add_f64 v[170:171], v[2:3], v[14:15]
	v_fma_f64 v[14:15], s[2:3], v[0:1], v[58:59]
	v_fmac_f64_e32 v[58:59], s[6:7], v[0:1]
	v_add_f64 v[0:1], v[138:139], v[142:143]
	v_add_f64 v[36:37], v[142:143], v[54:55]
	v_fmac_f64_e32 v[54:55], -0.5, v[0:1]
	v_add_f64 v[0:1], v[144:145], -v[140:141]
	;; [unrolled: 7-line block ×3, first 2 shown]
	v_fma_f64 v[4:5], s[2:3], v[0:1], v[98:99]
	v_fmac_f64_e32 v[98:99], s[6:7], v[0:1]
	s_waitcnt vmcnt(2)
	v_add_f64 v[0:1], v[146:147], v[114:115]
	v_add_f64 v[40:41], v[114:115], v[94:95]
	v_fmac_f64_e32 v[94:95], -0.5, v[0:1]
	v_add_f64 v[0:1], v[116:117], -v[148:149]
	v_fmac_f64_e32 v[112:113], -0.5, v[2:3]
	v_fma_f64 v[2:3], s[2:3], v[0:1], v[94:95]
	v_fmac_f64_e32 v[94:95], s[6:7], v[0:1]
	s_waitcnt vmcnt(1)
	v_add_f64 v[0:1], v[130:131], v[134:135]
	v_add_f64 v[42:43], v[134:135], v[90:91]
	v_fmac_f64_e32 v[90:91], -0.5, v[0:1]
	v_add_f64 v[30:31], v[136:137], -v[132:133]
	v_mad_u32_u24 v162, v164, 24, 0
	v_add_u32_e32 v176, 0x1f4, v164
	v_add_u32_e32 v182, 0x177, v164
	v_fma_f64 v[0:1], s[2:3], v[30:31], v[90:91]
	v_fmac_f64_e32 v[90:91], s[6:7], v[30:31]
	v_add_f64 v[44:45], v[154:155], v[20:21]
	v_add_f64 v[34:35], v[66:67], v[24:25]
	;; [unrolled: 1-line block ×7, first 2 shown]
	s_waitcnt vmcnt(0)
	v_add_f64 v[36:37], v[118:119], v[106:107]
	v_add_u32_e32 v163, 0xbb8, v162
	v_add_u32_e32 v172, 0x1770, v162
	v_mad_u32_u24 v173, v182, 24, 0
	v_mad_u32_u24 v174, v176, 24, 0
	v_add_u32_e32 v175, 0x3a98, v162
	v_add_u32_e32 v177, 0x4650, v162
	;; [unrolled: 1-line block ×3, first 2 shown]
	ds_write2_b64 v162, v[44:45], v[10:11] offset1:1
	v_add_f64 v[10:11], v[106:107], v[8:9]
	v_fmac_f64_e32 v[8:9], -0.5, v[36:37]
	ds_write2_b64 v163, v[12:13], v[18:19] offset1:1
	v_add_f64 v[12:13], v[108:109], -v[120:121]
	ds_write_b64 v162, v[150:151] offset:16
	ds_write_b64 v162, v[110:111] offset:3016
	ds_write2_b64 v172, v[34:35], v[22:23] offset1:1
	ds_write_b64 v162, v[102:103] offset:6016
	ds_write2_b64 v173, v[32:33], v[16:17] offset1:1
	;; [unrolled: 2-line block ×6, first 2 shown]
	ds_write_b64 v162, v[94:95] offset:21016
	v_add_f64 v[94:95], v[64:65], v[104:105]
	v_add_f64 v[20:21], v[130:131], v[42:43]
	;; [unrolled: 1-line block ×3, first 2 shown]
	v_fma_f64 v[18:19], s[2:3], v[12:13], v[8:9]
	v_fmac_f64_e32 v[8:9], s[6:7], v[12:13]
	v_add_u32_e32 v195, 0x5dc0, v162
	v_add_u32_e32 v196, 0x6980, v162
	v_lshl_add_u32 v165, v164, 3, 0
	v_lshl_add_u32 v190, v176, 3, 0
	v_fma_f64 v[54:55], s[6:7], v[86:87], v[112:113]
	v_add_f64 v[58:59], v[156:157], v[160:161]
	v_add_f64 v[64:65], v[68:69], v[64:65]
	v_add_f64 v[62:63], v[62:63], -v[66:67]
	v_add_f64 v[66:67], v[68:69], v[94:95]
	v_add_f64 v[68:69], v[72:73], v[52:53]
	ds_write2_b64 v195, v[20:21], v[0:1] offset1:1
	ds_write_b64 v162, v[90:91] offset:24016
	ds_write_b64 v162, v[10:11] offset:27000
	ds_write2_b64 v196, v[18:19], v[8:9] offset1:1
	s_waitcnt lgkmcnt(0)
	s_barrier
	ds_read2_b64 v[4:7], v165 offset1:125
	v_add_u32_e32 v191, 0x1000, v165
	v_add_u32_e32 v192, 0x2800, v165
	;; [unrolled: 1-line block ×8, first 2 shown]
	ds_read_b64 v[166:167], v165 offset:2000
	v_lshl_add_u32 v188, v182, 3, 0
	v_add_u32_e32 v184, 0x2000, v165
	v_add_u32_e32 v187, 0x3800, v165
	;; [unrolled: 1-line block ×4, first 2 shown]
	ds_read_b64 v[110:111], v190
	ds_read_b64 v[150:151], v188
	ds_read_b64 v[168:169], v165 offset:29000
	ds_read2_b64 v[0:3], v191 offset0:113 offset1:238
	ds_read2_b64 v[32:35], v192 offset0:95 offset1:220
	;; [unrolled: 1-line block ×12, first 2 shown]
	s_waitcnt lgkmcnt(0)
	s_barrier
	ds_write2_b64 v163, v[170:171], v[54:55] offset1:1
	v_add_f64 v[54:55], v[160:161], v[152:153]
	v_add_f64 v[90:91], v[158:159], -v[154:155]
	v_add_f64 v[72:73], v[76:77], v[72:73]
	v_add_f64 v[70:71], v[70:71], -v[74:75]
	v_add_f64 v[68:69], v[76:77], v[68:69]
	v_add_f64 v[74:75], v[80:81], v[60:61]
	v_add_f64 v[76:77], v[84:85], v[80:81]
	v_add_f64 v[78:79], v[78:79], -v[82:83]
	v_add_f64 v[82:83], v[140:141], v[144:145]
	v_add_f64 v[94:95], v[128:129], v[100:101]
	;; [unrolled: 4-line block ×4, first 2 shown]
	v_fmac_f64_e32 v[152:153], -0.5, v[58:59]
	v_add_f64 v[54:55], v[156:157], v[54:55]
	v_add_f64 v[74:75], v[84:85], v[74:75]
	;; [unrolled: 1-line block ×3, first 2 shown]
	v_add_f64 v[84:85], v[142:143], -v[138:139]
	v_add_f64 v[94:95], v[124:125], v[94:95]
	v_add_f64 v[114:115], v[114:115], -v[146:147]
	v_add_f64 v[124:125], v[136:137], v[92:93]
	v_add_f64 v[106:107], v[106:107], -v[118:119]
	v_fma_f64 v[58:59], s[6:7], v[90:91], v[152:153]
	v_fmac_f64_e32 v[104:105], -0.5, v[64:65]
	v_fmac_f64_e32 v[52:53], -0.5, v[72:73]
	;; [unrolled: 1-line block ×8, first 2 shown]
	ds_write2_b64 v162, v[54:55], v[58:59] offset1:1
	v_fmac_f64_e32 v[152:153], s[2:3], v[90:91]
	v_fmac_f64_e32 v[112:113], s[2:3], v[86:87]
	v_fma_f64 v[54:55], s[6:7], v[62:63], v[104:105]
	v_fmac_f64_e32 v[104:105], s[2:3], v[62:63]
	v_fma_f64 v[58:59], s[6:7], v[70:71], v[52:53]
	;; [unrolled: 2-line block ×8, first 2 shown]
	v_fmac_f64_e32 v[88:89], s[2:3], v[106:107]
	v_add_u32_e32 v183, 0x7d, v164
	s_movk_i32 s3, 0xab
	v_add_f64 v[80:81], v[140:141], v[80:81]
	v_add_f64 v[122:123], v[148:149], v[122:123]
	;; [unrolled: 1-line block ×4, first 2 shown]
	ds_write_b64 v162, v[152:153] offset:16
	ds_write_b64 v162, v[112:113] offset:3016
	ds_write2_b64 v172, v[66:67], v[54:55] offset1:1
	ds_write_b64 v162, v[104:105] offset:6016
	ds_write2_b64 v173, v[68:69], v[58:59] offset1:1
	;; [unrolled: 2-line block ×7, first 2 shown]
	ds_write_b64 v162, v[92:93] offset:24016
	ds_write_b64 v162, v[118:119] offset:27000
	ds_write2_b64 v196, v[78:79], v[88:89] offset1:1
	v_mul_lo_u16_sdwa v52, v183, s3 dst_sel:DWORD dst_unused:UNUSED_PAD src0_sel:BYTE_0 src1_sel:DWORD
	v_lshrrev_b16_e32 v135, 9, v52
	v_mul_lo_u16_e32 v52, 3, v135
	v_mov_b32_e32 v134, 6
	v_sub_u16_e32 v136, v183, v52
	v_lshlrev_b32_sdwa v52, v134, v136 dst_sel:DWORD dst_unused:UNUSED_PAD src0_sel:DWORD src1_sel:BYTE_0
	v_add_u32_e32 v189, 0xfa, v164
	s_mov_b32 s2, 0xaaab
	s_waitcnt lgkmcnt(0)
	s_barrier
	global_load_dwordx4 v[72:75], v52, s[4:5]
	global_load_dwordx4 v[64:67], v52, s[4:5] offset:16
	v_mul_u32_u24_sdwa v53, v189, s2 dst_sel:DWORD dst_unused:UNUSED_PAD src0_sel:WORD_0 src1_sel:DWORD
	v_lshrrev_b32_e32 v139, 17, v53
	v_mul_lo_u16_e32 v53, 3, v139
	v_sub_u16_e32 v140, v189, v53
	v_lshlrev_b32_e32 v53, 6, v140
	global_load_dwordx4 v[84:87], v53, s[4:5]
	global_load_dwordx4 v[80:83], v53, s[4:5] offset:16
	global_load_dwordx4 v[76:79], v52, s[4:5] offset:32
	;; [unrolled: 1-line block ×3, first 2 shown]
	v_mul_lo_u16_sdwa v54, v164, s3 dst_sel:DWORD dst_unused:UNUSED_PAD src0_sel:BYTE_0 src1_sel:DWORD
	v_lshrrev_b16_e32 v124, 9, v54
	v_mul_lo_u16_e32 v54, 3, v124
	v_sub_u16_e32 v125, v164, v54
	v_lshlrev_b32_sdwa v112, v134, v125 dst_sel:DWORD dst_unused:UNUSED_PAD src0_sel:DWORD src1_sel:BYTE_0
	global_load_dwordx4 v[60:63], v112, s[4:5] offset:16
	global_load_dwordx4 v[56:59], v52, s[4:5] offset:48
	v_add_u32_e32 v177, 0x271, v164
	global_load_dwordx4 v[52:55], v53, s[4:5] offset:48
	v_mul_u32_u24_sdwa v88, v177, s2 dst_sel:DWORD dst_unused:UNUSED_PAD src0_sel:WORD_0 src1_sel:DWORD
	v_lshrrev_b32_e32 v137, 17, v88
	v_mul_lo_u16_e32 v88, 3, v137
	v_sub_u16_e32 v138, v177, v88
	v_lshlrev_b32_e32 v113, 6, v138
	global_load_dwordx4 v[100:103], v113, s[4:5]
	global_load_dwordx4 v[92:95], v112, s[4:5] offset:32
	global_load_dwordx4 v[96:99], v113, s[4:5] offset:16
	;; [unrolled: 1-line block ×4, first 2 shown]
	v_mul_u32_u24_sdwa v108, v182, s2 dst_sel:DWORD dst_unused:UNUSED_PAD src0_sel:WORD_0 src1_sel:DWORD
	v_lshrrev_b32_e32 v142, 17, v108
	v_mul_lo_u16_e32 v108, 3, v142
	v_sub_u16_e32 v141, v182, v108
	v_mul_u32_u24_sdwa v108, v176, s2 dst_sel:DWORD dst_unused:UNUSED_PAD src0_sel:WORD_0 src1_sel:DWORD
	v_lshrrev_b32_e32 v144, 17, v108
	v_mul_lo_u16_e32 v108, 3, v144
	v_lshlrev_b32_e32 v122, 6, v141
	v_sub_u16_e32 v143, v176, v108
	global_load_dwordx4 v[126:129], v122, s[4:5]
	global_load_dwordx4 v[146:149], v122, s[4:5] offset:16
	v_lshlrev_b32_e32 v123, 6, v143
	global_load_dwordx4 v[130:133], v123, s[4:5]
	global_load_dwordx4 v[152:155], v123, s[4:5] offset:16
	global_load_dwordx4 v[156:159], v122, s[4:5] offset:32
	;; [unrolled: 1-line block ×5, first 2 shown]
	global_load_dwordx4 v[196:199], v112, s[4:5]
	global_load_dwordx4 v[200:203], v113, s[4:5] offset:48
	ds_read2_b64 v[114:117], v178 offset0:107 offset1:232
	ds_read2_b64 v[118:121], v181 offset0:89 offset1:214
	v_mov_b32_e32 v195, 3
	s_mov_b32 s6, 0x134454ff
	s_mov_b32 s7, 0x3fee6f0e
	;; [unrolled: 1-line block ×11, first 2 shown]
	s_movk_i32 s14, 0x78
	s_movk_i32 s18, 0xbb8
	;; [unrolled: 1-line block ×8, first 2 shown]
	s_waitcnt vmcnt(23) lgkmcnt(1)
	v_mul_f64 v[108:109], v[114:115], v[74:75]
	v_fma_f64 v[108:109], v[48:49], v[72:73], -v[108:109]
	v_mul_f64 v[74:75], v[48:49], v[74:75]
	s_waitcnt vmcnt(22) lgkmcnt(0)
	v_mul_f64 v[48:49], v[118:119], v[66:67]
	v_fmac_f64_e32 v[74:75], v[114:115], v[72:73]
	v_fma_f64 v[72:73], v[44:45], v[64:65], -v[48:49]
	v_mul_f64 v[66:67], v[44:45], v[66:67]
	s_waitcnt vmcnt(21)
	v_mul_f64 v[44:45], v[116:117], v[86:87]
	v_fma_f64 v[48:49], v[50:51], v[84:85], -v[44:45]
	v_mul_f64 v[44:45], v[50:51], v[86:87]
	v_fmac_f64_e32 v[66:67], v[118:119], v[64:65]
	v_fmac_f64_e32 v[44:45], v[116:117], v[84:85]
	ds_read2_b64 v[116:119], v180 offset0:71 offset1:196
	s_waitcnt vmcnt(20)
	v_mul_f64 v[50:51], v[120:121], v[82:83]
	v_fma_f64 v[50:51], v[46:47], v[80:81], -v[50:51]
	v_mul_f64 v[46:47], v[46:47], v[82:83]
	v_fmac_f64_e32 v[46:47], v[120:121], v[80:81]
	s_waitcnt vmcnt(19) lgkmcnt(0)
	v_mul_f64 v[64:65], v[116:117], v[78:79]
	v_fma_f64 v[114:115], v[40:41], v[76:77], -v[64:65]
	v_mul_f64 v[84:85], v[40:41], v[78:79]
	s_waitcnt vmcnt(18)
	v_mul_f64 v[40:41], v[118:119], v[70:71]
	ds_read2_b64 v[80:83], v192 offset0:95 offset1:220
	v_fmac_f64_e32 v[84:85], v[116:117], v[76:77]
	v_fma_f64 v[78:79], v[42:43], v[68:69], -v[40:41]
	v_mul_f64 v[76:77], v[42:43], v[70:71]
	ds_read2_b64 v[40:43], v179 offset0:53 offset1:178
	s_waitcnt vmcnt(17) lgkmcnt(1)
	v_mul_f64 v[64:65], v[82:83], v[62:63]
	v_fma_f64 v[86:87], v[34:35], v[60:61], -v[64:65]
	v_mul_f64 v[120:121], v[34:35], v[62:63]
	v_fmac_f64_e32 v[76:77], v[118:119], v[68:69]
	s_waitcnt vmcnt(16) lgkmcnt(0)
	v_mul_f64 v[34:35], v[40:41], v[58:59]
	v_fma_f64 v[118:119], v[36:37], v[56:57], -v[34:35]
	s_waitcnt vmcnt(15)
	v_mul_f64 v[34:35], v[42:43], v[54:55]
	v_mul_f64 v[116:117], v[36:37], v[58:59]
	v_fma_f64 v[62:63], v[38:39], v[52:53], -v[34:35]
	ds_read2_b64 v[34:37], v194 offset0:77 offset1:202
	v_mul_f64 v[112:113], v[38:39], v[54:55]
	s_waitcnt vmcnt(14)
	v_mul_f64 v[38:39], v[80:81], v[102:103]
	v_fmac_f64_e32 v[116:117], v[40:41], v[56:57]
	v_fma_f64 v[70:71], v[32:33], v[100:101], -v[38:39]
	ds_read2_b64 v[38:41], v193 offset0:59 offset1:184
	v_mul_f64 v[54:55], v[32:33], v[102:103]
	s_waitcnt vmcnt(13) lgkmcnt(1)
	v_mul_f64 v[32:33], v[36:37], v[94:95]
	v_fmac_f64_e32 v[54:55], v[80:81], v[100:101]
	v_fma_f64 v[100:101], v[30:31], v[92:93], -v[32:33]
	v_mul_f64 v[94:95], v[30:31], v[94:95]
	s_waitcnt vmcnt(12)
	v_mul_f64 v[30:31], v[34:35], v[98:99]
	v_fma_f64 v[80:81], v[28:29], v[96:97], -v[30:31]
	v_mul_f64 v[64:65], v[28:29], v[98:99]
	s_waitcnt vmcnt(11) lgkmcnt(0)
	v_mul_f64 v[28:29], v[40:41], v[90:91]
	v_fma_f64 v[122:123], v[26:27], v[88:89], -v[28:29]
	ds_read2_b64 v[28:31], v184 offset0:101 offset1:226
	ds_read2_b64 v[56:59], v187 offset0:83 offset1:208
	v_fmac_f64_e32 v[94:95], v[36:37], v[92:93]
	v_mul_f64 v[92:93], v[26:27], v[90:91]
	s_waitcnt vmcnt(10)
	v_mul_f64 v[26:27], v[38:39], v[106:107]
	v_fmac_f64_e32 v[120:121], v[82:83], v[60:61]
	v_fma_f64 v[82:83], v[24:25], v[104:105], -v[26:27]
	v_mul_f64 v[68:69], v[24:25], v[106:107]
	s_waitcnt vmcnt(9) lgkmcnt(1)
	v_mul_f64 v[24:25], v[28:29], v[128:129]
	v_fmac_f64_e32 v[64:65], v[34:35], v[96:97]
	v_fmac_f64_e32 v[92:93], v[40:41], v[88:89]
	v_fma_f64 v[40:41], v[20:21], v[126:127], -v[24:25]
	v_mul_f64 v[34:35], v[20:21], v[128:129]
	s_waitcnt vmcnt(7)
	v_mul_f64 v[20:21], v[30:31], v[132:133]
	v_fmac_f64_e32 v[34:35], v[28:29], v[126:127]
	v_fma_f64 v[28:29], v[22:23], v[130:131], -v[20:21]
	s_waitcnt lgkmcnt(0)
	v_mul_f64 v[20:21], v[56:57], v[148:149]
	v_fmac_f64_e32 v[112:113], v[42:43], v[52:53]
	v_mul_f64 v[24:25], v[22:23], v[132:133]
	v_fma_f64 v[42:43], v[16:17], v[146:147], -v[20:21]
	ds_read2_b64 v[20:23], v186 offset0:65 offset1:190
	v_mul_f64 v[36:37], v[16:17], v[148:149]
	s_waitcnt vmcnt(6)
	v_mul_f64 v[16:17], v[58:59], v[154:155]
	v_fmac_f64_e32 v[24:25], v[30:31], v[130:131]
	v_fma_f64 v[30:31], v[18:19], v[152:153], -v[16:17]
	s_waitcnt vmcnt(5) lgkmcnt(0)
	v_mul_f64 v[16:17], v[20:21], v[158:159]
	v_mul_f64 v[26:27], v[18:19], v[154:155]
	v_fma_f64 v[52:53], v[12:13], v[156:157], -v[16:17]
	ds_read2_b64 v[16:19], v191 offset0:113 offset1:238
	v_fmac_f64_e32 v[68:69], v[38:39], v[104:105]
	v_mul_f64 v[38:39], v[12:13], v[158:159]
	s_waitcnt vmcnt(3)
	v_mul_f64 v[12:13], v[22:23], v[172:173]
	v_fma_f64 v[32:33], v[14:15], v[170:171], -v[12:13]
	v_mul_f64 v[12:13], v[14:15], v[172:173]
	s_waitcnt vmcnt(1) lgkmcnt(0)
	v_mul_f64 v[14:15], v[18:19], v[198:199]
	v_fmac_f64_e32 v[36:37], v[56:57], v[146:147]
	v_fmac_f64_e32 v[26:27], v[58:59], v[152:153]
	;; [unrolled: 1-line block ×4, first 2 shown]
	v_fma_f64 v[90:91], v[2:3], v[196:197], -v[14:15]
	v_mul_f64 v[104:105], v[2:3], v[198:199]
	ds_read_b64 v[2:3], v165 offset:29000
	ds_read2_b64 v[20:23], v185 offset0:47 offset1:172
	ds_read_b64 v[58:59], v188
	ds_read_b64 v[56:57], v190
	ds_read_b64 v[60:61], v165 offset:2000
	s_waitcnt vmcnt(0)
	v_mul_f64 v[98:99], v[168:169], v[202:203]
	s_waitcnt lgkmcnt(4)
	v_mul_f64 v[14:15], v[2:3], v[202:203]
	v_fmac_f64_e32 v[98:99], v[2:3], v[200:201]
	s_waitcnt lgkmcnt(3)
	v_mul_f64 v[2:3], v[20:21], v[206:207]
	v_fma_f64 v[88:89], v[8:9], v[204:205], -v[2:3]
	v_mul_f64 v[2:3], v[22:23], v[210:211]
	v_fma_f64 v[102:103], v[168:169], v[200:201], -v[14:15]
	v_fma_f64 v[14:15], v[10:11], v[208:209], -v[2:3]
	v_add_f64 v[2:3], v[4:5], v[90:91]
	v_fmac_f64_e32 v[104:105], v[18:19], v[196:197]
	v_mul_f64 v[18:19], v[8:9], v[206:207]
	v_add_f64 v[2:3], v[2:3], v[86:87]
	v_fmac_f64_e32 v[18:19], v[20:21], v[204:205]
	v_mul_f64 v[8:9], v[10:11], v[210:211]
	v_add_f64 v[2:3], v[2:3], v[100:101]
	v_add_f64 v[10:11], v[90:91], -v[86:87]
	v_add_f64 v[20:21], v[122:123], -v[100:101]
	v_add_f64 v[106:107], v[2:3], v[122:123]
	v_add_f64 v[2:3], v[86:87], v[100:101]
	;; [unrolled: 1-line block ×3, first 2 shown]
	v_mul_u32_u24_e32 v10, 0x78, v124
	v_lshlrev_b32_sdwa v11, v195, v125 dst_sel:DWORD dst_unused:UNUSED_PAD src0_sel:DWORD src1_sel:BYTE_0
	v_fma_f64 v[2:3], -0.5, v[2:3], v[4:5]
	v_add3_u32 v145, 0, v10, v11
	v_add_f64 v[10:11], v[104:105], -v[92:93]
	v_fma_f64 v[124:125], s[6:7], v[10:11], v[2:3]
	v_add_f64 v[128:129], v[120:121], -v[94:95]
	v_fmac_f64_e32 v[124:125], s[2:3], v[128:129]
	v_fmac_f64_e32 v[2:3], s[10:11], v[10:11]
	v_fmac_f64_e32 v[124:125], s[8:9], v[96:97]
	v_fmac_f64_e32 v[2:3], s[12:13], v[128:129]
	v_fmac_f64_e32 v[8:9], v[22:23], v[208:209]
	ds_read2_b64 v[20:23], v165 offset1:125
	s_waitcnt lgkmcnt(0)
	s_barrier
	ds_write2_b64 v145, v[106:107], v[124:125] offset1:3
	v_fmac_f64_e32 v[2:3], s[8:9], v[96:97]
	v_add_f64 v[96:97], v[86:87], -v[90:91]
	v_add_f64 v[106:107], v[100:101], -v[122:123]
	v_add_f64 v[96:97], v[96:97], v[106:107]
	v_add_f64 v[106:107], v[90:91], v[122:123]
	v_fma_f64 v[124:125], -0.5, v[106:107], v[4:5]
	v_fma_f64 v[126:127], s[10:11], v[128:129], v[124:125]
	v_fmac_f64_e32 v[124:125], s[6:7], v[128:129]
	v_fmac_f64_e32 v[126:127], s[2:3], v[10:11]
	;; [unrolled: 1-line block ×3, first 2 shown]
	v_add_f64 v[4:5], v[90:91], -v[122:123]
	v_add_f64 v[10:11], v[86:87], -v[100:101]
	;; [unrolled: 1-line block ×4, first 2 shown]
	v_fmac_f64_e32 v[126:127], s[8:9], v[96:97]
	v_fmac_f64_e32 v[124:125], s[8:9], v[96:97]
	v_add_f64 v[96:97], v[86:87], v[90:91]
	v_add_f64 v[86:87], v[120:121], v[94:95]
	v_fma_f64 v[86:87], -0.5, v[86:87], v[20:21]
	v_fma_f64 v[90:91], s[10:11], v[4:5], v[86:87]
	v_fmac_f64_e32 v[86:87], s[6:7], v[4:5]
	v_fmac_f64_e32 v[90:91], s[12:13], v[10:11]
	;; [unrolled: 1-line block ×5, first 2 shown]
	v_add_f64 v[96:97], v[20:21], v[104:105]
	v_add_f64 v[96:97], v[96:97], v[120:121]
	;; [unrolled: 1-line block ×4, first 2 shown]
	v_add_f64 v[100:101], v[120:121], -v[104:105]
	v_add_f64 v[104:105], v[104:105], v[92:93]
	v_add_f64 v[92:93], v[94:95], -v[92:93]
	v_add_f64 v[100:101], v[100:101], v[92:93]
	v_fma_f64 v[92:93], -0.5, v[104:105], v[20:21]
	v_fma_f64 v[94:95], s[6:7], v[10:11], v[92:93]
	v_fmac_f64_e32 v[92:93], s[10:11], v[10:11]
	v_fmac_f64_e32 v[94:95], s[12:13], v[4:5]
	;; [unrolled: 1-line block ×3, first 2 shown]
	v_add_f64 v[4:5], v[108:109], -v[72:73]
	v_add_f64 v[10:11], v[118:119], -v[114:115]
	v_add_f64 v[4:5], v[4:5], v[10:11]
	v_add_f64 v[10:11], v[72:73], v[114:115]
	v_fma_f64 v[20:21], -0.5, v[10:11], v[6:7]
	v_add_f64 v[10:11], v[74:75], -v[116:117]
	v_fmac_f64_e32 v[94:95], s[8:9], v[100:101]
	v_fmac_f64_e32 v[92:93], s[8:9], v[100:101]
	v_fma_f64 v[122:123], s[6:7], v[10:11], v[20:21]
	v_add_f64 v[100:101], v[66:67], -v[84:85]
	v_fmac_f64_e32 v[20:21], s[10:11], v[10:11]
	v_fmac_f64_e32 v[122:123], s[2:3], v[100:101]
	;; [unrolled: 1-line block ×3, first 2 shown]
	v_add_f64 v[104:105], v[108:109], v[118:119]
	v_fmac_f64_e32 v[122:123], s[8:9], v[4:5]
	v_fmac_f64_e32 v[20:21], s[8:9], v[4:5]
	v_add_f64 v[4:5], v[6:7], v[108:109]
	v_fmac_f64_e32 v[6:7], -0.5, v[104:105]
	v_add_f64 v[104:105], v[72:73], -v[108:109]
	v_add_f64 v[106:107], v[114:115], -v[118:119]
	v_fma_f64 v[128:129], s[10:11], v[100:101], v[6:7]
	v_fmac_f64_e32 v[6:7], s[6:7], v[100:101]
	v_add_f64 v[104:105], v[104:105], v[106:107]
	v_fmac_f64_e32 v[128:129], s[2:3], v[10:11]
	v_fmac_f64_e32 v[6:7], s[12:13], v[10:11]
	v_add_f64 v[4:5], v[4:5], v[72:73]
	v_add_f64 v[10:11], v[72:73], -v[114:115]
	v_add_f64 v[72:73], v[74:75], -v[66:67]
	;; [unrolled: 1-line block ×3, first 2 shown]
	v_fmac_f64_e32 v[128:129], s[8:9], v[104:105]
	v_fmac_f64_e32 v[6:7], s[8:9], v[104:105]
	v_add_f64 v[4:5], v[4:5], v[114:115]
	v_add_f64 v[104:105], v[72:73], v[100:101]
	;; [unrolled: 1-line block ×4, first 2 shown]
	v_add_f64 v[4:5], v[108:109], -v[118:119]
	v_fma_f64 v[72:73], -0.5, v[72:73], v[22:23]
	v_fma_f64 v[100:101], s[10:11], v[4:5], v[72:73]
	v_fmac_f64_e32 v[72:73], s[6:7], v[4:5]
	v_fmac_f64_e32 v[100:101], s[12:13], v[10:11]
	;; [unrolled: 1-line block ×5, first 2 shown]
	v_add_f64 v[104:105], v[22:23], v[74:75]
	v_add_f64 v[104:105], v[104:105], v[66:67]
	;; [unrolled: 1-line block ×3, first 2 shown]
	v_add_f64 v[66:67], v[66:67], -v[74:75]
	v_add_f64 v[74:75], v[104:105], v[84:85]
	v_fmac_f64_e32 v[22:23], -0.5, v[106:107]
	v_add_f64 v[104:105], v[74:75], v[116:117]
	v_add_f64 v[74:75], v[84:85], -v[116:117]
	v_add_f64 v[66:67], v[66:67], v[74:75]
	v_fma_f64 v[74:75], s[6:7], v[10:11], v[22:23]
	v_fmac_f64_e32 v[22:23], s[10:11], v[10:11]
	v_fmac_f64_e32 v[74:75], s[12:13], v[4:5]
	;; [unrolled: 1-line block ×3, first 2 shown]
	v_add_f64 v[4:5], v[48:49], -v[50:51]
	v_add_f64 v[10:11], v[62:63], -v[78:79]
	v_add_f64 v[4:5], v[4:5], v[10:11]
	v_add_f64 v[10:11], v[50:51], v[78:79]
	v_fma_f64 v[114:115], -0.5, v[10:11], v[166:167]
	v_add_f64 v[10:11], v[44:45], -v[112:113]
	v_fmac_f64_e32 v[74:75], s[8:9], v[66:67]
	v_fmac_f64_e32 v[22:23], s[8:9], v[66:67]
	v_fma_f64 v[116:117], s[6:7], v[10:11], v[114:115]
	v_add_f64 v[66:67], v[46:47], -v[76:77]
	v_fmac_f64_e32 v[114:115], s[10:11], v[10:11]
	v_fmac_f64_e32 v[116:117], s[2:3], v[66:67]
	;; [unrolled: 1-line block ×5, first 2 shown]
	v_add_f64 v[4:5], v[166:167], v[48:49]
	v_add_f64 v[84:85], v[48:49], v[62:63]
	v_fmac_f64_e32 v[166:167], -0.5, v[84:85]
	v_add_f64 v[4:5], v[4:5], v[50:51]
	v_fma_f64 v[118:119], s[10:11], v[66:67], v[166:167]
	v_fmac_f64_e32 v[166:167], s[6:7], v[66:67]
	v_add_f64 v[4:5], v[4:5], v[78:79]
	v_add_f64 v[84:85], v[50:51], -v[48:49]
	v_fmac_f64_e32 v[118:119], s[2:3], v[10:11]
	v_fmac_f64_e32 v[166:167], s[12:13], v[10:11]
	v_add_f64 v[132:133], v[4:5], v[62:63]
	v_add_f64 v[4:5], v[48:49], -v[62:63]
	v_add_f64 v[10:11], v[50:51], -v[78:79]
	v_add_f64 v[48:49], v[44:45], -v[46:47]
	v_add_f64 v[50:51], v[112:113], -v[76:77]
	v_add_f64 v[48:49], v[48:49], v[50:51]
	v_add_f64 v[50:51], v[46:47], v[76:77]
	v_add_f64 v[106:107], v[78:79], -v[62:63]
	v_fma_f64 v[62:63], -0.5, v[50:51], v[60:61]
	v_fma_f64 v[78:79], s[10:11], v[4:5], v[62:63]
	v_fmac_f64_e32 v[62:63], s[6:7], v[4:5]
	v_fmac_f64_e32 v[78:79], s[12:13], v[10:11]
	;; [unrolled: 1-line block ×5, first 2 shown]
	v_add_f64 v[48:49], v[60:61], v[44:45]
	v_add_f64 v[50:51], v[44:45], v[112:113]
	;; [unrolled: 1-line block ×4, first 2 shown]
	v_fmac_f64_e32 v[60:61], -0.5, v[50:51]
	v_add_f64 v[44:45], v[46:47], -v[44:45]
	v_add_f64 v[46:47], v[48:49], v[76:77]
	v_fmac_f64_e32 v[118:119], s[8:9], v[84:85]
	v_fmac_f64_e32 v[166:167], s[8:9], v[84:85]
	v_add_f64 v[84:85], v[46:47], v[112:113]
	v_add_f64 v[46:47], v[76:77], -v[112:113]
	v_fma_f64 v[76:77], s[6:7], v[10:11], v[60:61]
	v_fmac_f64_e32 v[60:61], s[10:11], v[10:11]
	v_add_f64 v[44:45], v[44:45], v[46:47]
	v_fmac_f64_e32 v[76:77], s[12:13], v[4:5]
	v_fmac_f64_e32 v[60:61], s[2:3], v[4:5]
	v_add_f64 v[4:5], v[70:71], -v[80:81]
	v_add_f64 v[10:11], v[102:103], -v[82:83]
	v_fmac_f64_e32 v[76:77], s[8:9], v[44:45]
	v_fmac_f64_e32 v[60:61], s[8:9], v[44:45]
	v_add_f64 v[44:45], v[4:5], v[10:11]
	v_add_f64 v[4:5], v[80:81], v[82:83]
	v_fma_f64 v[4:5], -0.5, v[4:5], v[0:1]
	v_add_f64 v[46:47], v[54:55], -v[98:99]
	v_fma_f64 v[10:11], s[6:7], v[46:47], v[4:5]
	v_add_f64 v[48:49], v[64:65], -v[68:69]
	v_fmac_f64_e32 v[4:5], s[10:11], v[46:47]
	v_fmac_f64_e32 v[10:11], s[2:3], v[48:49]
	;; [unrolled: 1-line block ×5, first 2 shown]
	v_add_f64 v[44:45], v[70:71], v[102:103]
	v_add_f64 v[50:51], v[0:1], v[70:71]
	v_fmac_f64_e32 v[0:1], -0.5, v[44:45]
	v_add_f64 v[44:45], v[80:81], -v[70:71]
	v_add_f64 v[66:67], v[82:83], -v[102:103]
	v_add_f64 v[66:67], v[44:45], v[66:67]
	v_fma_f64 v[44:45], s[10:11], v[48:49], v[0:1]
	v_fmac_f64_e32 v[0:1], s[6:7], v[48:49]
	v_fmac_f64_e32 v[44:45], s[2:3], v[46:47]
	;; [unrolled: 1-line block ×5, first 2 shown]
	v_add_f64 v[48:49], v[70:71], -v[102:103]
	v_add_f64 v[66:67], v[54:55], -v[64:65]
	;; [unrolled: 1-line block ×3, first 2 shown]
	v_add_f64 v[46:47], v[50:51], v[80:81]
	v_add_f64 v[50:51], v[80:81], -v[82:83]
	v_add_f64 v[80:81], v[66:67], v[70:71]
	v_add_f64 v[66:67], v[64:65], v[68:69]
	v_fma_f64 v[66:67], -0.5, v[66:67], v[16:17]
	v_fma_f64 v[70:71], s[10:11], v[48:49], v[66:67]
	v_fmac_f64_e32 v[66:67], s[6:7], v[48:49]
	v_fmac_f64_e32 v[70:71], s[12:13], v[50:51]
	;; [unrolled: 1-line block ×5, first 2 shown]
	v_add_f64 v[80:81], v[16:17], v[54:55]
	v_add_f64 v[46:47], v[46:47], v[82:83]
	;; [unrolled: 1-line block ×4, first 2 shown]
	v_fmac_f64_e32 v[16:17], -0.5, v[82:83]
	v_add_f64 v[54:55], v[64:65], -v[54:55]
	v_add_f64 v[64:65], v[80:81], v[68:69]
	v_add_f64 v[68:69], v[68:69], -v[98:99]
	v_add_f64 v[54:55], v[54:55], v[68:69]
	v_fma_f64 v[68:69], s[6:7], v[50:51], v[16:17]
	v_fmac_f64_e32 v[16:17], s[10:11], v[50:51]
	v_fmac_f64_e32 v[68:69], s[12:13], v[48:49]
	;; [unrolled: 1-line block ×3, first 2 shown]
	v_add_f64 v[48:49], v[40:41], -v[42:43]
	v_add_f64 v[50:51], v[88:89], -v[52:53]
	v_add_f64 v[48:49], v[48:49], v[50:51]
	v_add_f64 v[50:51], v[42:43], v[52:53]
	v_fmac_f64_e32 v[68:69], s[8:9], v[54:55]
	v_fmac_f64_e32 v[16:17], s[8:9], v[54:55]
	v_fma_f64 v[50:51], -0.5, v[50:51], v[150:151]
	v_add_f64 v[54:55], v[34:35], -v[18:19]
	v_fma_f64 v[112:113], s[6:7], v[54:55], v[50:51]
	v_add_f64 v[80:81], v[36:37], -v[38:39]
	v_fmac_f64_e32 v[50:51], s[10:11], v[54:55]
	v_fmac_f64_e32 v[112:113], s[2:3], v[80:81]
	v_fmac_f64_e32 v[50:51], s[12:13], v[80:81]
	v_add_f64 v[82:83], v[40:41], v[88:89]
	v_fmac_f64_e32 v[112:113], s[8:9], v[48:49]
	v_fmac_f64_e32 v[50:51], s[8:9], v[48:49]
	v_add_f64 v[48:49], v[150:151], v[40:41]
	v_fmac_f64_e32 v[150:151], -0.5, v[82:83]
	v_fma_f64 v[146:147], s[10:11], v[80:81], v[150:151]
	v_fmac_f64_e32 v[150:151], s[6:7], v[80:81]
	v_add_f64 v[48:49], v[48:49], v[42:43]
	v_add_f64 v[64:65], v[64:65], v[98:99]
	v_add_f64 v[82:83], v[42:43], -v[40:41]
	v_add_f64 v[98:99], v[52:53], -v[88:89]
	v_fmac_f64_e32 v[146:147], s[2:3], v[54:55]
	v_fmac_f64_e32 v[150:151], s[12:13], v[54:55]
	v_add_f64 v[48:49], v[48:49], v[52:53]
	v_add_f64 v[42:43], v[42:43], -v[52:53]
	v_add_f64 v[52:53], v[34:35], -v[36:37]
	;; [unrolled: 1-line block ×3, first 2 shown]
	v_add_f64 v[52:53], v[52:53], v[54:55]
	v_add_f64 v[54:55], v[36:37], v[38:39]
	;; [unrolled: 1-line block ×3, first 2 shown]
	v_add_f64 v[40:41], v[40:41], -v[88:89]
	v_fma_f64 v[80:81], -0.5, v[54:55], v[58:59]
	v_fmac_f64_e32 v[146:147], s[8:9], v[82:83]
	v_fmac_f64_e32 v[150:151], s[8:9], v[82:83]
	v_fma_f64 v[82:83], s[10:11], v[40:41], v[80:81]
	v_fmac_f64_e32 v[80:81], s[6:7], v[40:41]
	v_fmac_f64_e32 v[82:83], s[12:13], v[42:43]
	;; [unrolled: 1-line block ×5, first 2 shown]
	v_add_f64 v[52:53], v[58:59], v[34:35]
	v_add_f64 v[54:55], v[34:35], v[18:19]
	;; [unrolled: 1-line block ×3, first 2 shown]
	v_fmac_f64_e32 v[58:59], -0.5, v[54:55]
	v_add_f64 v[34:35], v[36:37], -v[34:35]
	v_add_f64 v[36:37], v[52:53], v[38:39]
	v_add_f64 v[48:49], v[48:49], v[88:89]
	;; [unrolled: 1-line block ×3, first 2 shown]
	v_add_f64 v[18:19], v[38:39], -v[18:19]
	v_fma_f64 v[98:99], s[6:7], v[42:43], v[58:59]
	v_fmac_f64_e32 v[58:59], s[10:11], v[42:43]
	v_add_f64 v[18:19], v[34:35], v[18:19]
	v_fmac_f64_e32 v[98:99], s[12:13], v[40:41]
	v_fmac_f64_e32 v[58:59], s[2:3], v[40:41]
	v_fmac_f64_e32 v[98:99], s[8:9], v[18:19]
	v_fmac_f64_e32 v[58:59], s[8:9], v[18:19]
	v_add_f64 v[18:19], v[28:29], -v[30:31]
	v_add_f64 v[34:35], v[14:15], -v[32:33]
	v_add_f64 v[18:19], v[18:19], v[34:35]
	v_add_f64 v[34:35], v[30:31], v[32:33]
	v_fma_f64 v[34:35], -0.5, v[34:35], v[110:111]
	v_add_f64 v[36:37], v[24:25], -v[8:9]
	v_fma_f64 v[38:39], s[6:7], v[36:37], v[34:35]
	v_add_f64 v[40:41], v[26:27], -v[12:13]
	v_fmac_f64_e32 v[34:35], s[10:11], v[36:37]
	v_fmac_f64_e32 v[38:39], s[2:3], v[40:41]
	;; [unrolled: 1-line block ×5, first 2 shown]
	v_add_f64 v[18:19], v[110:111], v[28:29]
	v_add_f64 v[18:19], v[18:19], v[30:31]
	;; [unrolled: 1-line block ×4, first 2 shown]
	v_fmac_f64_e32 v[110:111], -0.5, v[42:43]
	v_add_f64 v[42:43], v[30:31], -v[28:29]
	v_add_f64 v[52:53], v[32:33], -v[14:15]
	v_add_f64 v[18:19], v[18:19], v[14:15]
	v_add_f64 v[14:15], v[28:29], -v[14:15]
	v_add_f64 v[28:29], v[30:31], -v[32:33]
	;; [unrolled: 1-line block ×4, first 2 shown]
	v_add_f64 v[30:31], v[30:31], v[32:33]
	v_add_f64 v[32:33], v[26:27], v[12:13]
	;; [unrolled: 1-line block ×3, first 2 shown]
	v_fma_f64 v[102:103], -0.5, v[32:33], v[56:57]
	v_fma_f64 v[106:107], s[10:11], v[14:15], v[102:103]
	v_fmac_f64_e32 v[102:103], s[6:7], v[14:15]
	v_fmac_f64_e32 v[106:107], s[12:13], v[28:29]
	v_fmac_f64_e32 v[102:103], s[2:3], v[28:29]
	v_fmac_f64_e32 v[106:107], s[8:9], v[30:31]
	v_fmac_f64_e32 v[102:103], s[8:9], v[30:31]
	v_add_f64 v[30:31], v[56:57], v[24:25]
	v_add_f64 v[32:33], v[24:25], v[8:9]
	;; [unrolled: 1-line block ×3, first 2 shown]
	v_fmac_f64_e32 v[56:57], -0.5, v[32:33]
	v_add_f64 v[24:25], v[26:27], -v[24:25]
	v_add_f64 v[26:27], v[30:31], v[12:13]
	v_add_f64 v[108:109], v[26:27], v[8:9]
	v_add_f64 v[8:9], v[12:13], -v[8:9]
	v_fma_f64 v[120:121], s[6:7], v[28:29], v[56:57]
	v_fmac_f64_e32 v[56:57], s[10:11], v[28:29]
	v_add_f64 v[8:9], v[24:25], v[8:9]
	v_fmac_f64_e32 v[120:121], s[12:13], v[14:15]
	v_fmac_f64_e32 v[56:57], s[2:3], v[14:15]
	;; [unrolled: 1-line block ×4, first 2 shown]
	v_mul_u32_u24_e32 v8, 0x78, v135
	v_lshlrev_b32_sdwa v9, v195, v136 dst_sel:DWORD dst_unused:UNUSED_PAD src0_sel:DWORD src1_sel:BYTE_0
	v_add3_u32 v135, 0, v8, v9
	v_mul_u32_u24_e32 v8, 0x78, v139
	v_lshlrev_b32_e32 v9, 3, v140
	v_add3_u32 v136, 0, v8, v9
	ds_write2_b64 v145, v[126:127], v[124:125] offset0:6 offset1:9
	ds_write_b64 v145, v[2:3] offset:96
	ds_write2_b64 v135, v[130:131], v[122:123] offset1:3
	ds_write2_b64 v135, v[128:129], v[6:7] offset0:6 offset1:9
	ds_write_b64 v135, v[20:21] offset:96
	ds_write2_b64 v136, v[132:133], v[116:117] offset1:3
	ds_write2_b64 v136, v[118:119], v[166:167] offset0:6 offset1:9
	ds_write_b64 v136, v[114:115] offset:96
	v_perm_b32 v2, v144, v142, s15
	v_pk_mul_lo_u16 v2, v2, s14 op_sel_hi:[1,0]
	v_add_f64 v[42:43], v[42:43], v[52:53]
	v_fma_f64 v[52:53], s[10:11], v[40:41], v[110:111]
	v_fmac_f64_e32 v[110:111], s[6:7], v[40:41]
	v_and_b32_e32 v3, 0xfff8, v2
	v_lshlrev_b32_e32 v6, 3, v141
	v_fmac_f64_e32 v[110:111], s[12:13], v[36:37]
	v_add3_u32 v122, 0, v3, v6
	v_lshrrev_b32_e32 v2, 16, v2
	v_lshlrev_b32_e32 v3, 3, v143
	v_fmac_f64_e32 v[52:53], s[2:3], v[36:37]
	v_fmac_f64_e32 v[110:111], s[8:9], v[42:43]
	v_add3_u32 v123, 0, v2, v3
	v_mul_u32_u24_e32 v2, 0x78, v137
	v_lshlrev_b32_e32 v3, 3, v138
	v_fmac_f64_e32 v[52:53], s[8:9], v[42:43]
	ds_write2_b64 v122, v[48:49], v[112:113] offset1:3
	ds_write2_b64 v122, v[146:147], v[150:151] offset0:6 offset1:9
	ds_write_b64 v122, v[50:51] offset:96
	ds_write2_b64 v123, v[18:19], v[38:39] offset1:3
	ds_write2_b64 v123, v[52:53], v[110:111] offset0:6 offset1:9
	ds_write_b64 v123, v[34:35] offset:96
	v_add3_u32 v110, 0, v2, v3
	s_movk_i32 s14, 0x89
	ds_write2_b64 v110, v[46:47], v[10:11] offset1:3
	ds_write2_b64 v110, v[44:45], v[0:1] offset0:6 offset1:9
	ds_write_b64 v110, v[4:5] offset:96
	s_waitcnt lgkmcnt(0)
	s_barrier
	ds_read2_b64 v[4:7], v165 offset1:125
	ds_read2_b64 v[0:3], v191 offset0:113 offset1:238
	ds_read2_b64 v[18:21], v192 offset0:95 offset1:220
	ds_read2_b64 v[8:11], v194 offset0:77 offset1:202
	ds_read2_b64 v[12:15], v193 offset0:59 offset1:184
	ds_read2_b64 v[52:55], v178 offset0:107 offset1:232
	ds_read2_b64 v[28:31], v181 offset0:89 offset1:214
	ds_read2_b64 v[44:47], v180 offset0:71 offset1:196
	ds_read2_b64 v[40:43], v179 offset0:53 offset1:178
	ds_read_b64 v[116:117], v165 offset:2000
	ds_read2_b64 v[48:51], v184 offset0:101 offset1:226
	ds_read2_b64 v[36:39], v187 offset0:83 offset1:208
	;; [unrolled: 1-line block ×4, first 2 shown]
	ds_read_b64 v[112:113], v190
	ds_read_b64 v[114:115], v188
	ds_read_b64 v[118:119], v165 offset:29000
	s_waitcnt lgkmcnt(0)
	s_barrier
	ds_write2_b64 v145, v[96:97], v[90:91] offset1:3
	ds_write2_b64 v145, v[94:95], v[92:93] offset0:6 offset1:9
	ds_write_b64 v145, v[86:87] offset:96
	ds_write2_b64 v135, v[104:105], v[100:101] offset1:3
	ds_write2_b64 v135, v[74:75], v[22:23] offset0:6 offset1:9
	ds_write_b64 v135, v[72:73] offset:96
	;; [unrolled: 3-line block ×6, first 2 shown]
	v_mul_lo_u16_sdwa v16, v183, s14 dst_sel:DWORD dst_unused:UNUSED_PAD src0_sel:BYTE_0 src1_sel:DWORD
	v_lshrrev_b16_e32 v128, 11, v16
	v_mul_lo_u16_e32 v16, 15, v128
	v_sub_u16_e32 v129, v183, v16
	v_lshlrev_b32_sdwa v16, v134, v129 dst_sel:DWORD dst_unused:UNUSED_PAD src0_sel:DWORD src1_sel:BYTE_0
	s_waitcnt lgkmcnt(0)
	s_barrier
	global_load_dwordx4 v[84:87], v16, s[4:5] offset:192
	s_mov_b32 s15, 0x8889
	v_mul_u32_u24_sdwa v17, v189, s15 dst_sel:DWORD dst_unused:UNUSED_PAD src0_sel:WORD_0 src1_sel:DWORD
	v_lshrrev_b32_e32 v130, 19, v17
	v_mul_lo_u16_e32 v17, 15, v130
	v_sub_u16_e32 v131, v189, v17
	v_lshlrev_b32_e32 v17, 6, v131
	global_load_dwordx4 v[80:83], v17, s[4:5] offset:192
	global_load_dwordx4 v[76:79], v16, s[4:5] offset:208
	;; [unrolled: 1-line block ×7, first 2 shown]
	v_mul_u32_u24_sdwa v16, v182, s15 dst_sel:DWORD dst_unused:UNUSED_PAD src0_sel:WORD_0 src1_sel:DWORD
	v_lshrrev_b32_e32 v132, 19, v16
	v_mul_lo_u16_e32 v16, 15, v132
	v_sub_u16_e32 v133, v182, v16
	v_mul_u32_u24_sdwa v16, v176, s15 dst_sel:DWORD dst_unused:UNUSED_PAD src0_sel:WORD_0 src1_sel:DWORD
	v_lshlrev_b32_e32 v22, 6, v133
	v_lshrrev_b32_e32 v135, 19, v16
	global_load_dwordx4 v[88:91], v22, s[4:5] offset:192
	v_mul_lo_u16_e32 v16, 15, v135
	v_sub_u16_e32 v136, v176, v16
	v_lshlrev_b32_e32 v137, 6, v136
	global_load_dwordx4 v[100:103], v137, s[4:5] offset:192
	global_load_dwordx4 v[96:99], v22, s[4:5] offset:208
	;; [unrolled: 1-line block ×4, first 2 shown]
	ds_read2_b64 v[120:123], v178 offset0:107 offset1:232
	global_load_dwordx4 v[108:111], v137, s[4:5] offset:224
	global_load_dwordx4 v[144:147], v22, s[4:5] offset:240
	v_mul_lo_u16_sdwa v16, v164, s14 dst_sel:DWORD dst_unused:UNUSED_PAD src0_sel:BYTE_0 src1_sel:DWORD
	v_lshrrev_b16_e32 v138, 11, v16
	v_mul_lo_u16_e32 v16, 15, v138
	v_sub_u16_e32 v139, v164, v16
	v_lshlrev_b32_sdwa v160, v134, v139 dst_sel:DWORD dst_unused:UNUSED_PAD src0_sel:DWORD src1_sel:BYTE_0
	global_load_dwordx4 v[140:143], v160, s[4:5] offset:208
	global_load_dwordx4 v[156:159], v160, s[4:5] offset:224
	;; [unrolled: 1-line block ×5, first 2 shown]
	ds_read2_b64 v[124:127], v181 offset0:89 offset1:214
	ds_read2_b64 v[148:151], v180 offset0:71 offset1:196
	;; [unrolled: 1-line block ×5, first 2 shown]
	s_movk_i32 s14, 0x4b
	v_cmp_gt_u32_e32 vcc, s14, v164
	s_movk_i32 s14, 0xdb
	s_waitcnt vmcnt(19) lgkmcnt(5)
	v_mul_f64 v[16:17], v[120:121], v[86:87]
	v_fma_f64 v[22:23], v[52:53], v[84:85], -v[16:17]
	v_mul_f64 v[16:17], v[52:53], v[86:87]
	v_fmac_f64_e32 v[16:17], v[120:121], v[84:85]
	v_mul_u32_u24_sdwa v84, v177, s15 dst_sel:DWORD dst_unused:UNUSED_PAD src0_sel:WORD_0 src1_sel:DWORD
	v_lshrrev_b32_e32 v134, 19, v84
	v_mul_lo_u16_e32 v84, 15, v134
	v_sub_u16_e32 v137, v177, v84
	v_lshlrev_b32_e32 v86, 6, v137
	global_load_dwordx4 v[166:169], v86, s[4:5] offset:192
	global_load_dwordx4 v[196:199], v86, s[4:5] offset:208
	global_load_dwordx4 v[208:211], v86, s[4:5] offset:224
	s_waitcnt vmcnt(21)
	v_mul_f64 v[52:53], v[122:123], v[82:83]
	v_fma_f64 v[84:85], v[54:55], v[80:81], -v[52:53]
	v_mul_f64 v[52:53], v[54:55], v[82:83]
	s_waitcnt vmcnt(20) lgkmcnt(4)
	v_mul_f64 v[54:55], v[124:125], v[78:79]
	v_fmac_f64_e32 v[52:53], v[122:123], v[80:81]
	v_fma_f64 v[80:81], v[28:29], v[76:77], -v[54:55]
	v_mul_f64 v[78:79], v[28:29], v[78:79]
	s_waitcnt vmcnt(19)
	v_mul_f64 v[28:29], v[126:127], v[74:75]
	v_fmac_f64_e32 v[78:79], v[124:125], v[76:77]
	v_fma_f64 v[76:77], v[30:31], v[72:73], -v[28:29]
	s_waitcnt vmcnt(18) lgkmcnt(3)
	v_mul_f64 v[28:29], v[148:149], v[70:71]
	v_mul_f64 v[74:75], v[30:31], v[74:75]
	v_fma_f64 v[124:125], v[44:45], v[68:69], -v[28:29]
	s_waitcnt vmcnt(17) lgkmcnt(2)
	v_mul_f64 v[28:29], v[170:171], v[66:67]
	v_fmac_f64_e32 v[74:75], v[126:127], v[72:73]
	v_fma_f64 v[126:127], v[40:41], v[64:65], -v[28:29]
	global_load_dwordx4 v[28:31], v86, s[4:5] offset:240
	v_mul_f64 v[122:123], v[40:41], v[66:67]
	s_waitcnt vmcnt(17)
	v_mul_f64 v[40:41], v[150:151], v[62:63]
	v_fma_f64 v[82:83], v[46:47], v[60:61], -v[40:41]
	s_waitcnt vmcnt(16)
	v_mul_f64 v[40:41], v[172:173], v[58:59]
	v_mul_f64 v[72:73], v[42:43], v[58:59]
	v_fma_f64 v[86:87], v[42:43], v[56:57], -v[40:41]
	v_fmac_f64_e32 v[72:73], v[172:173], v[56:57]
	ds_read2_b64 v[56:59], v186 offset0:65 offset1:190
	v_mul_f64 v[120:121], v[44:45], v[70:71]
	v_fmac_f64_e32 v[120:121], v[148:149], v[68:69]
	v_mul_f64 v[68:69], v[46:47], v[62:63]
	s_waitcnt vmcnt(15) lgkmcnt(2)
	v_mul_f64 v[40:41], v[204:205], v[90:91]
	v_fmac_f64_e32 v[68:69], v[150:151], v[60:61]
	v_fma_f64 v[60:61], v[48:49], v[88:89], -v[40:41]
	s_waitcnt vmcnt(14)
	v_mul_f64 v[40:41], v[206:207], v[102:103]
	s_waitcnt vmcnt(13) lgkmcnt(1)
	v_mul_f64 v[44:45], v[212:213], v[98:99]
	v_fma_f64 v[42:43], v[50:51], v[100:101], -v[40:41]
	v_mul_f64 v[40:41], v[50:51], v[102:103]
	v_fma_f64 v[62:63], v[36:37], v[96:97], -v[44:45]
	v_mul_f64 v[50:51], v[36:37], v[98:99]
	s_waitcnt vmcnt(12)
	v_mul_f64 v[36:37], v[214:215], v[94:95]
	v_fma_f64 v[44:45], v[38:39], v[92:93], -v[36:37]
	v_mul_f64 v[36:37], v[38:39], v[94:95]
	s_waitcnt vmcnt(11) lgkmcnt(0)
	v_mul_f64 v[38:39], v[56:57], v[106:107]
	v_fma_f64 v[66:67], v[32:33], v[104:105], -v[38:39]
	v_mul_f64 v[54:55], v[32:33], v[106:107]
	s_waitcnt vmcnt(10)
	v_mul_f64 v[32:33], v[58:59], v[110:111]
	v_fmac_f64_e32 v[50:51], v[212:213], v[96:97]
	ds_read2_b64 v[94:97], v192 offset0:95 offset1:220
	v_fma_f64 v[38:39], v[34:35], v[108:109], -v[32:33]
	v_mul_f64 v[32:33], v[34:35], v[110:111]
	v_fmac_f64_e32 v[54:55], v[56:57], v[104:105]
	v_fmac_f64_e32 v[32:33], v[58:59], v[108:109]
	ds_read2_b64 v[56:59], v185 offset0:47 offset1:172
	v_fmac_f64_e32 v[40:41], v[206:207], v[100:101]
	ds_read2_b64 v[98:101], v194 offset0:77 offset1:202
	v_mul_f64 v[48:49], v[48:49], v[90:91]
	s_waitcnt vmcnt(8) lgkmcnt(2)
	v_mul_f64 v[34:35], v[96:97], v[142:143]
	v_fmac_f64_e32 v[122:123], v[170:171], v[64:65]
	v_fmac_f64_e32 v[48:49], v[204:205], v[88:89]
	v_fmac_f64_e32 v[36:37], v[214:215], v[92:93]
	v_fma_f64 v[92:93], v[20:21], v[140:141], -v[34:35]
	v_mul_f64 v[88:89], v[20:21], v[142:143]
	s_waitcnt lgkmcnt(1)
	v_mul_f64 v[20:21], v[56:57], v[146:147]
	v_mul_f64 v[64:65], v[24:25], v[146:147]
	s_waitcnt vmcnt(6)
	v_mul_f64 v[34:35], v[26:27], v[154:155]
	v_fma_f64 v[70:71], v[24:25], v[144:145], -v[20:21]
	v_fmac_f64_e32 v[64:65], v[56:57], v[144:145]
	v_mul_f64 v[20:21], v[58:59], v[154:155]
	v_fmac_f64_e32 v[34:35], v[58:59], v[152:153]
	ds_read2_b64 v[56:59], v193 offset0:59 offset1:184
	v_fma_f64 v[46:47], v[26:27], v[152:153], -v[20:21]
	s_waitcnt lgkmcnt(1)
	v_mul_f64 v[20:21], v[100:101], v[158:159]
	v_fmac_f64_e32 v[88:89], v[96:97], v[140:141]
	v_fma_f64 v[96:97], v[10:11], v[156:157], -v[20:21]
	v_mul_f64 v[90:91], v[10:11], v[158:159]
	v_fmac_f64_e32 v[90:91], v[100:101], v[156:157]
	v_add_f64 v[142:143], v[88:89], -v[90:91]
	v_mov_b32_e32 v155, 0
	s_waitcnt vmcnt(3)
	v_mul_f64 v[10:11], v[94:95], v[168:169]
	v_fma_f64 v[24:25], v[18:19], v[166:167], -v[10:11]
	s_waitcnt vmcnt(2)
	v_mul_f64 v[10:11], v[98:99], v[198:199]
	v_fma_f64 v[26:27], v[8:9], v[196:197], -v[10:11]
	v_mul_f64 v[20:21], v[8:9], v[198:199]
	s_waitcnt lgkmcnt(0)
	v_mul_f64 v[8:9], v[58:59], v[202:203]
	v_fmac_f64_e32 v[20:21], v[98:99], v[196:197]
	v_fma_f64 v[98:99], v[14:15], v[200:201], -v[8:9]
	ds_read2_b64 v[8:11], v191 offset0:113 offset1:238
	v_mul_f64 v[18:19], v[18:19], v[168:169]
	v_fmac_f64_e32 v[18:19], v[94:95], v[166:167]
	v_mul_f64 v[94:95], v[14:15], v[202:203]
	s_waitcnt vmcnt(1)
	v_mul_f64 v[14:15], v[56:57], v[210:211]
	v_fma_f64 v[14:15], v[12:13], v[208:209], -v[14:15]
	v_mul_f64 v[12:13], v[12:13], v[210:211]
	v_fmac_f64_e32 v[12:13], v[56:57], v[208:209]
	s_waitcnt lgkmcnt(0)
	v_mul_f64 v[56:57], v[10:11], v[218:219]
	v_fma_f64 v[100:101], v[2:3], v[216:217], -v[56:57]
	ds_read_b64 v[56:57], v165 offset:29000
	v_mul_f64 v[2:3], v[2:3], v[218:219]
	v_fmac_f64_e32 v[2:3], v[10:11], v[216:217]
	v_fmac_f64_e32 v[94:95], v[58:59], v[200:201]
	v_add_f64 v[58:59], v[98:99], -v[96:97]
	s_waitcnt vmcnt(0) lgkmcnt(0)
	v_mul_f64 v[10:11], v[56:57], v[30:31]
	v_fma_f64 v[108:109], v[118:119], v[28:29], -v[10:11]
	v_add_f64 v[10:11], v[4:5], v[100:101]
	v_add_f64 v[10:11], v[10:11], v[92:93]
	v_mul_f64 v[30:31], v[118:119], v[30:31]
	v_add_f64 v[10:11], v[10:11], v[96:97]
	v_fmac_f64_e32 v[30:31], v[56:57], v[28:29]
	v_add_f64 v[28:29], v[10:11], v[98:99]
	v_add_f64 v[10:11], v[92:93], v[96:97]
	v_fma_f64 v[10:11], -0.5, v[10:11], v[4:5]
	v_add_f64 v[118:119], v[2:3], -v[94:95]
	v_add_f64 v[56:57], v[100:101], -v[92:93]
	v_fma_f64 v[140:141], s[6:7], v[118:119], v[10:11]
	v_add_f64 v[110:111], v[56:57], v[58:59]
	v_mul_u32_u24_e32 v56, 0x258, v138
	v_lshlrev_b32_sdwa v57, v195, v139 dst_sel:DWORD dst_unused:UNUSED_PAD src0_sel:DWORD src1_sel:BYTE_0
	v_fmac_f64_e32 v[140:141], s[2:3], v[142:143]
	v_add3_u32 v138, 0, v56, v57
	v_fmac_f64_e32 v[140:141], s[8:9], v[110:111]
	ds_read_b64 v[104:105], v188
	ds_read_b64 v[102:103], v190
	ds_read_b64 v[106:107], v165 offset:2000
	ds_read2_b64 v[56:59], v165 offset1:125
	s_waitcnt lgkmcnt(0)
	s_barrier
	ds_write2_b64 v138, v[28:29], v[140:141] offset1:15
	v_add_f64 v[28:29], v[92:93], -v[100:101]
	v_add_f64 v[140:141], v[96:97], -v[98:99]
	v_add_f64 v[28:29], v[28:29], v[140:141]
	v_add_f64 v[140:141], v[100:101], v[98:99]
	v_fma_f64 v[4:5], -0.5, v[140:141], v[4:5]
	v_fma_f64 v[140:141], s[10:11], v[142:143], v[4:5]
	v_fmac_f64_e32 v[4:5], s[6:7], v[142:143]
	v_fmac_f64_e32 v[140:141], s[2:3], v[118:119]
	;; [unrolled: 1-line block ×5, first 2 shown]
	v_add_f64 v[28:29], v[92:93], -v[96:97]
	v_add_f64 v[92:93], v[2:3], -v[88:89]
	;; [unrolled: 1-line block ×3, first 2 shown]
	ds_write2_b64 v138, v[140:141], v[4:5] offset0:30 offset1:45
	v_add_f64 v[4:5], v[100:101], -v[98:99]
	v_add_f64 v[98:99], v[92:93], v[96:97]
	v_add_f64 v[92:93], v[88:89], v[90:91]
	v_fma_f64 v[92:93], -0.5, v[92:93], v[56:57]
	v_fma_f64 v[96:97], s[10:11], v[4:5], v[92:93]
	v_fmac_f64_e32 v[92:93], s[6:7], v[4:5]
	v_fmac_f64_e32 v[96:97], s[12:13], v[28:29]
	;; [unrolled: 1-line block ×5, first 2 shown]
	v_add_f64 v[98:99], v[56:57], v[2:3]
	v_add_f64 v[98:99], v[98:99], v[88:89]
	;; [unrolled: 1-line block ×3, first 2 shown]
	v_add_f64 v[88:89], v[88:89], -v[2:3]
	v_add_f64 v[2:3], v[2:3], v[94:95]
	v_add_f64 v[90:91], v[90:91], -v[94:95]
	v_add_f64 v[98:99], v[98:99], v[94:95]
	v_add_f64 v[94:95], v[88:89], v[90:91]
	v_fma_f64 v[88:89], -0.5, v[2:3], v[56:57]
	v_fma_f64 v[90:91], s[6:7], v[28:29], v[88:89]
	v_fmac_f64_e32 v[88:89], s[10:11], v[28:29]
	v_fmac_f64_e32 v[90:91], s[12:13], v[4:5]
	v_fmac_f64_e32 v[88:89], s[2:3], v[4:5]
	v_add_f64 v[2:3], v[22:23], -v[80:81]
	v_add_f64 v[4:5], v[126:127], -v[124:125]
	v_add_f64 v[28:29], v[2:3], v[4:5]
	v_add_f64 v[2:3], v[80:81], v[124:125]
	v_fma_f64 v[2:3], -0.5, v[2:3], v[6:7]
	v_add_f64 v[56:57], v[16:17], -v[122:123]
	v_fmac_f64_e32 v[90:91], s[8:9], v[94:95]
	v_fmac_f64_e32 v[88:89], s[8:9], v[94:95]
	v_fma_f64 v[4:5], s[6:7], v[56:57], v[2:3]
	v_add_f64 v[94:95], v[78:79], -v[120:121]
	v_fmac_f64_e32 v[2:3], s[10:11], v[56:57]
	v_fmac_f64_e32 v[10:11], s[10:11], v[118:119]
	;; [unrolled: 1-line block ×7, first 2 shown]
	v_add_f64 v[28:29], v[22:23], v[126:127]
	v_fmac_f64_e32 v[10:11], s[8:9], v[110:111]
	v_add_f64 v[100:101], v[6:7], v[22:23]
	v_fmac_f64_e32 v[6:7], -0.5, v[28:29]
	v_add_f64 v[28:29], v[80:81], -v[22:23]
	v_add_f64 v[110:111], v[124:125], -v[126:127]
	v_add_f64 v[110:111], v[28:29], v[110:111]
	v_fma_f64 v[28:29], s[10:11], v[94:95], v[6:7]
	v_fmac_f64_e32 v[6:7], s[6:7], v[94:95]
	v_fmac_f64_e32 v[28:29], s[2:3], v[56:57]
	;; [unrolled: 1-line block ×5, first 2 shown]
	v_add_f64 v[56:57], v[100:101], v[80:81]
	v_add_f64 v[110:111], v[80:81], -v[124:125]
	v_add_f64 v[80:81], v[16:17], -v[78:79]
	;; [unrolled: 1-line block ×3, first 2 shown]
	v_add_f64 v[100:101], v[80:81], v[94:95]
	v_add_f64 v[80:81], v[78:79], v[120:121]
	v_add_f64 v[22:23], v[22:23], -v[126:127]
	v_fma_f64 v[80:81], -0.5, v[80:81], v[58:59]
	v_fma_f64 v[94:95], s[10:11], v[22:23], v[80:81]
	v_fmac_f64_e32 v[80:81], s[6:7], v[22:23]
	v_fmac_f64_e32 v[94:95], s[12:13], v[110:111]
	;; [unrolled: 1-line block ×5, first 2 shown]
	v_add_f64 v[100:101], v[58:59], v[16:17]
	v_add_f64 v[100:101], v[100:101], v[78:79]
	;; [unrolled: 1-line block ×3, first 2 shown]
	v_add_f64 v[16:17], v[78:79], -v[16:17]
	v_add_f64 v[78:79], v[100:101], v[120:121]
	v_fmac_f64_e32 v[58:59], -0.5, v[118:119]
	v_add_f64 v[100:101], v[78:79], v[122:123]
	v_add_f64 v[78:79], v[120:121], -v[122:123]
	v_add_f64 v[16:17], v[16:17], v[78:79]
	v_fma_f64 v[78:79], s[6:7], v[110:111], v[58:59]
	v_fmac_f64_e32 v[58:59], s[10:11], v[110:111]
	v_fmac_f64_e32 v[78:79], s[12:13], v[22:23]
	;; [unrolled: 1-line block ×5, first 2 shown]
	v_add_f64 v[16:17], v[84:85], -v[76:77]
	v_add_f64 v[22:23], v[86:87], -v[82:83]
	v_add_f64 v[110:111], v[16:17], v[22:23]
	v_add_f64 v[16:17], v[76:77], v[82:83]
	v_fma_f64 v[16:17], -0.5, v[16:17], v[116:117]
	v_add_f64 v[118:119], v[52:53], -v[72:73]
	v_fma_f64 v[22:23], s[6:7], v[118:119], v[16:17]
	v_add_f64 v[120:121], v[74:75], -v[68:69]
	v_fmac_f64_e32 v[16:17], s[10:11], v[118:119]
	v_fmac_f64_e32 v[22:23], s[2:3], v[120:121]
	;; [unrolled: 1-line block ×3, first 2 shown]
	v_add_f64 v[122:123], v[84:85], v[86:87]
	v_add_f64 v[56:57], v[56:57], v[124:125]
	v_fmac_f64_e32 v[22:23], s[8:9], v[110:111]
	v_fmac_f64_e32 v[16:17], s[8:9], v[110:111]
	v_add_f64 v[110:111], v[116:117], v[84:85]
	v_fmac_f64_e32 v[116:117], -0.5, v[122:123]
	v_add_f64 v[122:123], v[76:77], -v[84:85]
	v_add_f64 v[124:125], v[82:83], -v[86:87]
	v_add_f64 v[124:125], v[122:123], v[124:125]
	v_fma_f64 v[122:123], s[10:11], v[120:121], v[116:117]
	v_fmac_f64_e32 v[116:117], s[6:7], v[120:121]
	v_add_f64 v[110:111], v[110:111], v[76:77]
	v_fmac_f64_e32 v[122:123], s[2:3], v[118:119]
	v_fmac_f64_e32 v[116:117], s[12:13], v[118:119]
	v_add_f64 v[110:111], v[110:111], v[82:83]
	v_fmac_f64_e32 v[122:123], s[8:9], v[124:125]
	v_fmac_f64_e32 v[116:117], s[8:9], v[124:125]
	v_add_f64 v[124:125], v[110:111], v[86:87]
	v_add_f64 v[84:85], v[84:85], -v[86:87]
	v_add_f64 v[86:87], v[76:77], -v[82:83]
	;; [unrolled: 1-line block ×4, first 2 shown]
	v_add_f64 v[110:111], v[76:77], v[82:83]
	v_add_f64 v[76:77], v[74:75], v[68:69]
	v_fma_f64 v[76:77], -0.5, v[76:77], v[106:107]
	v_fma_f64 v[82:83], s[10:11], v[84:85], v[76:77]
	v_fmac_f64_e32 v[76:77], s[6:7], v[84:85]
	v_fmac_f64_e32 v[82:83], s[12:13], v[86:87]
	;; [unrolled: 1-line block ×5, first 2 shown]
	v_add_f64 v[110:111], v[106:107], v[52:53]
	v_add_f64 v[118:119], v[52:53], v[72:73]
	v_add_f64 v[110:111], v[110:111], v[74:75]
	v_fmac_f64_e32 v[106:107], -0.5, v[118:119]
	v_add_f64 v[52:53], v[74:75], -v[52:53]
	v_add_f64 v[74:75], v[110:111], v[68:69]
	v_add_f64 v[68:69], v[68:69], -v[72:73]
	v_add_f64 v[52:53], v[52:53], v[68:69]
	v_fma_f64 v[68:69], s[6:7], v[86:87], v[106:107]
	v_fmac_f64_e32 v[106:107], s[10:11], v[86:87]
	v_fmac_f64_e32 v[68:69], s[12:13], v[84:85]
	;; [unrolled: 1-line block ×3, first 2 shown]
	v_add_f64 v[74:75], v[74:75], v[72:73]
	v_fmac_f64_e32 v[68:69], s[8:9], v[52:53]
	v_fmac_f64_e32 v[106:107], s[8:9], v[52:53]
	v_add_f64 v[52:53], v[60:61], -v[62:63]
	v_add_f64 v[72:73], v[70:71], -v[66:67]
	v_add_f64 v[72:73], v[52:53], v[72:73]
	v_add_f64 v[52:53], v[62:63], v[66:67]
	v_fma_f64 v[52:53], -0.5, v[52:53], v[114:115]
	v_add_f64 v[84:85], v[48:49], -v[64:65]
	v_add_f64 v[56:57], v[56:57], v[126:127]
	v_fma_f64 v[126:127], s[6:7], v[84:85], v[52:53]
	v_add_f64 v[86:87], v[50:51], -v[54:55]
	v_fmac_f64_e32 v[52:53], s[10:11], v[84:85]
	v_fmac_f64_e32 v[126:127], s[2:3], v[86:87]
	;; [unrolled: 1-line block ×5, first 2 shown]
	v_add_f64 v[72:73], v[114:115], v[60:61]
	v_add_f64 v[72:73], v[72:73], v[62:63]
	;; [unrolled: 1-line block ×4, first 2 shown]
	v_fmac_f64_e32 v[114:115], -0.5, v[110:111]
	v_add_f64 v[110:111], v[62:63], -v[60:61]
	v_add_f64 v[118:119], v[66:67], -v[70:71]
	v_add_f64 v[142:143], v[72:73], v[70:71]
	v_add_f64 v[70:71], v[60:61], -v[70:71]
	v_add_f64 v[72:73], v[62:63], -v[66:67]
	;; [unrolled: 1-line block ×4, first 2 shown]
	v_add_f64 v[66:67], v[60:61], v[62:63]
	v_add_f64 v[60:61], v[50:51], v[54:55]
	v_fma_f64 v[60:61], -0.5, v[60:61], v[104:105]
	v_fma_f64 v[62:63], s[10:11], v[70:71], v[60:61]
	v_fmac_f64_e32 v[60:61], s[6:7], v[70:71]
	v_fmac_f64_e32 v[62:63], s[12:13], v[72:73]
	v_fmac_f64_e32 v[60:61], s[2:3], v[72:73]
	v_fma_f64 v[140:141], s[10:11], v[86:87], v[114:115]
	v_fmac_f64_e32 v[114:115], s[6:7], v[86:87]
	v_fmac_f64_e32 v[62:63], s[8:9], v[66:67]
	;; [unrolled: 1-line block ×3, first 2 shown]
	v_add_f64 v[66:67], v[104:105], v[48:49]
	v_fmac_f64_e32 v[140:141], s[2:3], v[84:85]
	v_fmac_f64_e32 v[114:115], s[12:13], v[84:85]
	v_add_f64 v[84:85], v[48:49], v[64:65]
	v_add_f64 v[66:67], v[66:67], v[50:51]
	v_fmac_f64_e32 v[104:105], -0.5, v[84:85]
	v_add_f64 v[48:49], v[50:51], -v[48:49]
	v_add_f64 v[50:51], v[66:67], v[54:55]
	v_add_f64 v[66:67], v[50:51], v[64:65]
	v_add_f64 v[50:51], v[54:55], -v[64:65]
	v_fma_f64 v[64:65], s[6:7], v[72:73], v[104:105]
	v_fmac_f64_e32 v[104:105], s[10:11], v[72:73]
	v_add_f64 v[48:49], v[48:49], v[50:51]
	v_fmac_f64_e32 v[64:65], s[12:13], v[70:71]
	v_fmac_f64_e32 v[104:105], s[2:3], v[70:71]
	;; [unrolled: 1-line block ×4, first 2 shown]
	v_add_f64 v[48:49], v[42:43], -v[44:45]
	v_add_f64 v[50:51], v[46:47], -v[38:39]
	v_add_f64 v[50:51], v[48:49], v[50:51]
	v_add_f64 v[48:49], v[44:45], v[38:39]
	v_fma_f64 v[48:49], -0.5, v[48:49], v[112:113]
	v_add_f64 v[54:55], v[40:41], -v[34:35]
	v_fma_f64 v[144:145], s[6:7], v[54:55], v[48:49]
	v_add_f64 v[70:71], v[36:37], -v[32:33]
	v_fmac_f64_e32 v[48:49], s[10:11], v[54:55]
	v_fmac_f64_e32 v[144:145], s[2:3], v[70:71]
	;; [unrolled: 1-line block ×5, first 2 shown]
	v_add_f64 v[50:51], v[112:113], v[42:43]
	v_add_f64 v[50:51], v[50:51], v[44:45]
	;; [unrolled: 1-line block ×4, first 2 shown]
	v_fmac_f64_e32 v[112:113], -0.5, v[72:73]
	v_add_f64 v[72:73], v[44:45], -v[42:43]
	v_add_f64 v[84:85], v[38:39], -v[46:47]
	v_add_f64 v[50:51], v[50:51], v[46:47]
	v_add_f64 v[42:43], v[42:43], -v[46:47]
	v_add_f64 v[38:39], v[44:45], -v[38:39]
	;; [unrolled: 1-line block ×4, first 2 shown]
	v_fma_f64 v[146:147], s[10:11], v[70:71], v[112:113]
	v_fmac_f64_e32 v[112:113], s[6:7], v[70:71]
	v_add_f64 v[44:45], v[44:45], v[46:47]
	v_add_f64 v[46:47], v[36:37], v[32:33]
	;; [unrolled: 1-line block ×3, first 2 shown]
	v_fmac_f64_e32 v[146:147], s[2:3], v[54:55]
	v_fmac_f64_e32 v[112:113], s[12:13], v[54:55]
	v_fma_f64 v[70:71], -0.5, v[46:47], v[102:103]
	v_fmac_f64_e32 v[146:147], s[8:9], v[72:73]
	v_fmac_f64_e32 v[112:113], s[8:9], v[72:73]
	v_fma_f64 v[72:73], s[10:11], v[42:43], v[70:71]
	v_fmac_f64_e32 v[70:71], s[6:7], v[42:43]
	v_fmac_f64_e32 v[72:73], s[12:13], v[38:39]
	;; [unrolled: 1-line block ×5, first 2 shown]
	v_add_f64 v[44:45], v[102:103], v[40:41]
	v_add_f64 v[46:47], v[40:41], v[34:35]
	v_fmac_f64_e32 v[102:103], -0.5, v[46:47]
	v_add_f64 v[44:45], v[44:45], v[36:37]
	v_add_f64 v[36:37], v[36:37], -v[40:41]
	v_add_f64 v[40:41], v[44:45], v[32:33]
	v_add_f64 v[32:33], v[32:33], -v[34:35]
	v_fma_f64 v[86:87], s[6:7], v[38:39], v[102:103]
	v_fmac_f64_e32 v[102:103], s[10:11], v[38:39]
	v_add_f64 v[32:33], v[36:37], v[32:33]
	v_fmac_f64_e32 v[86:87], s[12:13], v[42:43]
	v_fmac_f64_e32 v[102:103], s[2:3], v[42:43]
	v_add_f64 v[84:85], v[40:41], v[34:35]
	v_fmac_f64_e32 v[86:87], s[8:9], v[32:33]
	v_fmac_f64_e32 v[102:103], s[8:9], v[32:33]
	v_add_f64 v[32:33], v[24:25], -v[26:27]
	v_add_f64 v[34:35], v[108:109], -v[14:15]
	v_add_f64 v[32:33], v[32:33], v[34:35]
	v_add_f64 v[34:35], v[26:27], v[14:15]
	v_fma_f64 v[34:35], -0.5, v[34:35], v[0:1]
	v_add_f64 v[36:37], v[18:19], -v[30:31]
	v_fma_f64 v[38:39], s[6:7], v[36:37], v[34:35]
	v_add_f64 v[40:41], v[20:21], -v[12:13]
	v_fmac_f64_e32 v[34:35], s[10:11], v[36:37]
	v_fmac_f64_e32 v[38:39], s[2:3], v[40:41]
	v_fmac_f64_e32 v[34:35], s[12:13], v[40:41]
	v_add_f64 v[42:43], v[24:25], v[108:109]
	v_fmac_f64_e32 v[38:39], s[8:9], v[32:33]
	v_fmac_f64_e32 v[34:35], s[8:9], v[32:33]
	v_add_f64 v[32:33], v[0:1], v[24:25]
	v_fmac_f64_e32 v[0:1], -0.5, v[42:43]
	v_add_f64 v[42:43], v[26:27], -v[24:25]
	v_add_f64 v[44:45], v[14:15], -v[108:109]
	v_add_f64 v[42:43], v[42:43], v[44:45]
	v_fma_f64 v[44:45], s[10:11], v[40:41], v[0:1]
	v_fmac_f64_e32 v[0:1], s[6:7], v[40:41]
	v_add_f64 v[32:33], v[32:33], v[26:27]
	v_fmac_f64_e32 v[44:45], s[2:3], v[36:37]
	v_fmac_f64_e32 v[0:1], s[12:13], v[36:37]
	v_add_f64 v[32:33], v[32:33], v[14:15]
	v_add_f64 v[14:15], v[26:27], -v[14:15]
	v_add_f64 v[26:27], v[18:19], -v[20:21]
	;; [unrolled: 1-line block ×3, first 2 shown]
	v_add_f64 v[26:27], v[26:27], v[36:37]
	v_add_f64 v[36:37], v[20:21], v[12:13]
	;; [unrolled: 1-line block ×4, first 2 shown]
	v_add_f64 v[24:25], v[24:25], -v[108:109]
	v_fma_f64 v[108:109], -0.5, v[36:37], v[8:9]
	v_fmac_f64_e32 v[140:141], s[8:9], v[110:111]
	v_fmac_f64_e32 v[114:115], s[8:9], v[110:111]
	v_fma_f64 v[110:111], s[10:11], v[24:25], v[108:109]
	v_fmac_f64_e32 v[108:109], s[6:7], v[24:25]
	ds_write_b64 v138, v[10:11] offset:480
	v_mul_u32_u24_e32 v10, 0x258, v128
	v_lshlrev_b32_sdwa v11, v195, v129 dst_sel:DWORD dst_unused:UNUSED_PAD src0_sel:DWORD src1_sel:BYTE_0
	v_fmac_f64_e32 v[110:111], s[12:13], v[14:15]
	v_fmac_f64_e32 v[108:109], s[2:3], v[14:15]
	v_add3_u32 v128, 0, v10, v11
	v_fmac_f64_e32 v[110:111], s[8:9], v[26:27]
	v_fmac_f64_e32 v[108:109], s[8:9], v[26:27]
	v_add_f64 v[26:27], v[8:9], v[18:19]
	v_add_f64 v[36:37], v[18:19], v[30:31]
	ds_write2_b64 v128, v[56:57], v[4:5] offset1:15
	ds_write2_b64 v128, v[28:29], v[6:7] offset0:30 offset1:45
	ds_write_b64 v128, v[2:3] offset:480
	v_mul_u32_u24_e32 v2, 0x258, v130
	v_lshlrev_b32_e32 v3, 3, v131
	v_fmac_f64_e32 v[8:9], -0.5, v[36:37]
	v_add_f64 v[26:27], v[26:27], v[20:21]
	v_add3_u32 v129, 0, v2, v3
	v_mul_u32_u24_e32 v2, 0x258, v132
	v_lshlrev_b32_e32 v3, 3, v133
	v_add_f64 v[18:19], v[20:21], -v[18:19]
	v_add_f64 v[20:21], v[26:27], v[12:13]
	v_add_f64 v[12:13], v[12:13], -v[30:31]
	v_fma_f64 v[120:121], s[6:7], v[14:15], v[8:9]
	v_fmac_f64_e32 v[8:9], s[10:11], v[14:15]
	ds_write2_b64 v129, v[124:125], v[22:23] offset1:15
	ds_write2_b64 v129, v[122:123], v[116:117] offset0:30 offset1:45
	ds_write_b64 v129, v[16:17] offset:480
	v_add3_u32 v116, 0, v2, v3
	v_mul_u32_u24_e32 v2, 0x258, v135
	v_lshlrev_b32_e32 v3, 3, v136
	v_add_f64 v[12:13], v[18:19], v[12:13]
	v_fmac_f64_e32 v[8:9], s[2:3], v[24:25]
	ds_write2_b64 v116, v[142:143], v[126:127] offset1:15
	ds_write2_b64 v116, v[140:141], v[114:115] offset0:30 offset1:45
	ds_write_b64 v116, v[52:53] offset:480
	v_add3_u32 v114, 0, v2, v3
	v_mul_u32_u24_e32 v2, 0x258, v134
	v_lshlrev_b32_e32 v3, 3, v137
	v_fmac_f64_e32 v[44:45], s[8:9], v[42:43]
	v_fmac_f64_e32 v[0:1], s[8:9], v[42:43]
	;; [unrolled: 1-line block ×4, first 2 shown]
	ds_write2_b64 v114, v[50:51], v[144:145] offset1:15
	ds_write2_b64 v114, v[146:147], v[112:113] offset0:30 offset1:45
	ds_write_b64 v114, v[48:49] offset:480
	v_add3_u32 v112, 0, v2, v3
	v_add_u32_e32 v134, 0x7c0, v165
	v_add_f64 v[118:119], v[20:21], v[30:31]
	v_fmac_f64_e32 v[120:121], s[8:9], v[12:13]
	ds_write2_b64 v112, v[32:33], v[38:39] offset1:15
	ds_write2_b64 v112, v[44:45], v[0:1] offset0:30 offset1:45
	ds_write_b64 v112, v[34:35] offset:480
	s_waitcnt lgkmcnt(0)
	s_barrier
	ds_read2_b64 v[0:3], v165 offset1:125
	ds_read2_b64 v[34:37], v191 offset0:113 offset1:238
	ds_read2_b64 v[54:57], v184 offset0:101 offset1:226
	;; [unrolled: 1-line block ×13, first 2 shown]
	ds_read_b64 v[132:133], v188
	ds_read_b64 v[130:131], v165 offset:29000
	s_waitcnt lgkmcnt(0)
	s_barrier
	ds_write2_b64 v138, v[98:99], v[96:97] offset1:15
	ds_write2_b64 v138, v[90:91], v[88:89] offset0:30 offset1:45
	ds_write_b64 v138, v[92:93] offset:480
	ds_write2_b64 v128, v[100:101], v[94:95] offset1:15
	ds_write2_b64 v128, v[78:79], v[58:59] offset0:30 offset1:45
	ds_write_b64 v128, v[80:81] offset:480
	;; [unrolled: 3-line block ×6, first 2 shown]
	v_add_u32_e32 v8, 0xffffffb5, v164
	v_cndmask_b32_e32 v196, v8, v164, vcc
	v_mul_i32_i24_e32 v154, 9, v196
	v_lshl_add_u64 v[8:9], v[154:155], 4, s[4:5]
	s_waitcnt lgkmcnt(0)
	s_barrier
	global_load_dwordx4 v[58:61], v[8:9], off offset:1184
	v_mul_lo_u16_sdwa v62, v183, s14 dst_sel:DWORD dst_unused:UNUSED_PAD src0_sel:BYTE_0 src1_sel:DWORD
	v_lshrrev_b16_e32 v197, 14, v62
	v_mul_lo_u16_e32 v62, 0x4b, v197
	v_sub_u16_e32 v154, v183, v62
	v_mov_b32_e32 v62, 9
	v_mul_u32_u24_sdwa v62, v154, v62 dst_sel:DWORD dst_unused:UNUSED_PAD src0_sel:BYTE_0 src1_sel:DWORD
	v_lshlrev_b32_e32 v128, 4, v62
	global_load_dwordx4 v[70:73], v128, s[4:5] offset:1184
	global_load_dwordx4 v[66:69], v[8:9], off offset:1216
	global_load_dwordx4 v[90:93], v128, s[4:5] offset:1216
	global_load_dwordx4 v[86:89], v[8:9], off offset:1248
	;; [unrolled: 2-line block ×4, first 2 shown]
	s_mov_b32 s14, 0xb4e9
	v_mul_u32_u24_sdwa v94, v189, s14 dst_sel:DWORD dst_unused:UNUSED_PAD src0_sel:WORD_0 src1_sel:DWORD
	v_sub_u16_sdwa v95, v189, v94 dst_sel:DWORD dst_unused:UNUSED_PAD src0_sel:DWORD src1_sel:WORD_1
	v_lshrrev_b16_e32 v95, 1, v95
	v_add_u16_sdwa v94, v95, v94 dst_sel:DWORD dst_unused:UNUSED_PAD src0_sel:DWORD src1_sel:WORD_1
	v_lshrrev_b16_e32 v198, 6, v94
	v_mul_lo_u16_e32 v94, 0x4b, v198
	v_sub_u16_e32 v199, v189, v94
	v_mul_u32_u24_e32 v94, 9, v199
	v_lshlrev_b32_e32 v135, 4, v94
	global_load_dwordx4 v[110:113], v135, s[4:5] offset:1152
	global_load_dwordx4 v[102:105], v128, s[4:5] offset:1168
	;; [unrolled: 1-line block ×3, first 2 shown]
	global_load_dwordx4 v[98:101], v[8:9], off offset:1200
	global_load_dwordx4 v[94:97], v128, s[4:5] offset:1200
	global_load_dwordx4 v[114:117], v135, s[4:5] offset:1184
	ds_read2_b64 v[136:139], v184 offset0:101 offset1:226
	global_load_dwordx4 v[118:121], v135, s[4:5] offset:1200
	ds_read2_b64 v[140:143], v187 offset0:83 offset1:208
	ds_read2_b64 v[144:147], v186 offset0:65 offset1:190
	global_load_dwordx4 v[122:125], v[8:9], off offset:1232
	global_load_dwordx4 v[170:173], v[8:9], off offset:1152
	global_load_dwordx4 v[148:151], v135, s[4:5] offset:1216
	global_load_dwordx4 v[200:203], v128, s[4:5] offset:1264
	;; [unrolled: 1-line block ×3, first 2 shown]
	global_load_dwordx4 v[166:169], v[8:9], off offset:1264
	global_load_dwordx4 v[204:207], v135, s[4:5] offset:1264
	global_load_dwordx4 v[208:211], v135, s[4:5] offset:1280
	s_mov_b32 s14, 0x9b97f4a8
	s_mov_b32 s15, 0x3fe9e377
	s_waitcnt vmcnt(23) lgkmcnt(2)
	v_mul_f64 v[126:127], v[136:137], v[60:61]
	v_fma_f64 v[126:127], v[54:55], v[58:59], -v[126:127]
	v_mul_f64 v[54:55], v[54:55], v[60:61]
	v_fmac_f64_e32 v[54:55], v[136:137], v[58:59]
	s_waitcnt vmcnt(22)
	v_mul_f64 v[58:59], v[138:139], v[72:73]
	v_fma_f64 v[58:59], v[56:57], v[70:71], -v[58:59]
	v_mul_f64 v[56:57], v[56:57], v[72:73]
	v_fmac_f64_e32 v[56:57], v[138:139], v[70:71]
	global_load_dwordx4 v[136:139], v128, s[4:5] offset:1232
	s_waitcnt vmcnt(22) lgkmcnt(1)
	v_mul_f64 v[60:61], v[140:141], v[68:69]
	v_fma_f64 v[70:71], v[50:51], v[66:67], -v[60:61]
	v_mul_f64 v[68:69], v[50:51], v[68:69]
	s_waitcnt vmcnt(21)
	v_mul_f64 v[50:51], v[142:143], v[92:93]
	v_fma_f64 v[60:61], v[52:53], v[90:91], -v[50:51]
	v_mul_f64 v[50:51], v[52:53], v[92:93]
	v_fmac_f64_e32 v[68:69], v[140:141], v[66:67]
	v_fmac_f64_e32 v[50:51], v[142:143], v[90:91]
	global_load_dwordx4 v[140:143], v135, s[4:5] offset:1248
	s_waitcnt vmcnt(21) lgkmcnt(0)
	v_mul_f64 v[52:53], v[144:145], v[88:89]
	v_fma_f64 v[72:73], v[46:47], v[86:87], -v[52:53]
	v_mul_f64 v[66:67], v[46:47], v[88:89]
	s_waitcnt vmcnt(20)
	v_mul_f64 v[46:47], v[146:147], v[76:77]
	v_fma_f64 v[52:53], v[48:49], v[74:75], -v[46:47]
	v_mul_f64 v[46:47], v[48:49], v[76:77]
	v_fmac_f64_e32 v[66:67], v[144:145], v[86:87]
	v_fmac_f64_e32 v[46:47], v[146:147], v[74:75]
	global_load_dwordx4 v[144:147], v128, s[4:5] offset:1152
	ds_read2_b64 v[88:91], v185 offset0:47 offset1:172
	s_waitcnt vmcnt(20)
	v_mul_f64 v[76:77], v[42:43], v[64:65]
	s_waitcnt vmcnt(13)
	v_mul_f64 v[74:75], v[30:31], v[96:97]
	v_add_f64 v[220:221], v[50:51], -v[46:47]
	v_add_f64 v[226:227], v[60:61], -v[52:53]
	s_waitcnt lgkmcnt(0)
	v_mul_f64 v[8:9], v[88:89], v[64:65]
	v_fma_f64 v[86:87], v[42:43], v[62:63], -v[8:9]
	v_fmac_f64_e32 v[76:77], v[88:89], v[62:63]
	ds_read2_b64 v[62:65], v191 offset0:113 offset1:238
	v_mul_f64 v[8:9], v[90:91], v[84:85]
	v_fma_f64 v[48:49], v[44:45], v[82:83], -v[8:9]
	v_mul_f64 v[44:45], v[44:45], v[84:85]
	v_fmac_f64_e32 v[44:45], v[90:91], v[82:83]
	s_waitcnt lgkmcnt(0)
	v_mul_f64 v[8:9], v[64:65], v[80:81]
	v_mul_f64 v[90:91], v[36:37], v[80:81]
	v_fma_f64 v[128:129], v[36:37], v[78:79], -v[8:9]
	v_fmac_f64_e32 v[90:91], v[64:65], v[78:79]
	ds_read2_b64 v[78:81], v178 offset0:107 offset1:232
	ds_read2_b64 v[82:85], v192 offset0:95 offset1:220
	v_mul_f64 v[8:9], v[62:63], v[112:113]
	v_fma_f64 v[36:37], v[34:35], v[110:111], -v[8:9]
	v_mul_f64 v[34:35], v[34:35], v[112:113]
	s_waitcnt lgkmcnt(1)
	v_mul_f64 v[8:9], v[78:79], v[104:105]
	v_fmac_f64_e32 v[34:35], v[62:63], v[110:111]
	v_fma_f64 v[64:65], v[38:39], v[102:103], -v[8:9]
	ds_read2_b64 v[110:113], v181 offset0:89 offset1:214
	v_mul_f64 v[8:9], v[80:81], v[108:109]
	v_mul_f64 v[62:63], v[38:39], v[104:105]
	v_fma_f64 v[42:43], v[40:41], v[106:107], -v[8:9]
	s_waitcnt lgkmcnt(1)
	v_mul_f64 v[8:9], v[84:85], v[100:101]
	v_fmac_f64_e32 v[62:63], v[78:79], v[102:103]
	v_fma_f64 v[102:103], v[28:29], v[98:99], -v[8:9]
	v_mul_f64 v[100:101], v[28:29], v[100:101]
	s_waitcnt vmcnt(12)
	v_mul_f64 v[28:29], v[82:83], v[116:117]
	v_mul_f64 v[38:39], v[40:41], v[108:109]
	v_fma_f64 v[28:29], v[26:27], v[114:115], -v[28:29]
	v_mul_f64 v[26:27], v[26:27], v[116:117]
	v_fmac_f64_e32 v[38:39], v[80:81], v[106:107]
	v_fmac_f64_e32 v[26:27], v[82:83], v[114:115]
	ds_read2_b64 v[80:83], v194 offset0:77 offset1:202
	s_waitcnt lgkmcnt(1)
	v_mul_f64 v[8:9], v[110:111], v[96:97]
	v_fma_f64 v[78:79], v[30:31], v[94:95], -v[8:9]
	v_fmac_f64_e32 v[74:75], v[110:111], v[94:95]
	ds_read2_b64 v[92:95], v180 offset0:71 offset1:196
	s_waitcnt vmcnt(11)
	v_mul_f64 v[8:9], v[112:113], v[120:121]
	ds_read2_b64 v[108:111], v193 offset0:59 offset1:184
	v_fma_f64 v[40:41], v[32:33], v[118:119], -v[8:9]
	s_waitcnt vmcnt(10) lgkmcnt(2)
	v_mul_f64 v[8:9], v[82:83], v[124:125]
	v_fmac_f64_e32 v[100:101], v[84:85], v[98:99]
	v_fma_f64 v[98:99], v[20:21], v[122:123], -v[8:9]
	s_waitcnt vmcnt(8)
	v_mul_f64 v[8:9], v[80:81], v[150:151]
	v_mul_f64 v[96:97], v[20:21], v[124:125]
	v_fma_f64 v[20:21], v[18:19], v[148:149], -v[8:9]
	v_fmac_f64_e32 v[96:97], v[82:83], v[122:123]
	v_mul_f64 v[30:31], v[32:33], v[120:121]
	s_waitcnt vmcnt(5)
	v_mul_f64 v[104:105], v[16:17], v[168:169]
	v_fmac_f64_e32 v[30:31], v[112:113], v[118:119]
	s_waitcnt lgkmcnt(0)
	v_fmac_f64_e32 v[104:105], v[110:111], v[166:167]
	v_mul_f64 v[18:19], v[18:19], v[150:151]
	v_fmac_f64_e32 v[18:19], v[80:81], v[148:149]
	v_mul_f64 v[84:85], v[10:11], v[202:203]
	s_waitcnt vmcnt(2)
	v_mul_f64 v[8:9], v[92:93], v[138:139]
	v_fma_f64 v[82:83], v[22:23], v[136:137], -v[8:9]
	v_mul_f64 v[8:9], v[94:95], v[158:159]
	v_fma_f64 v[32:33], v[24:25], v[156:157], -v[8:9]
	v_mul_f64 v[8:9], v[110:111], v[168:169]
	v_fma_f64 v[106:107], v[16:17], v[166:167], -v[8:9]
	v_mul_f64 v[80:81], v[22:23], v[138:139]
	v_mul_f64 v[22:23], v[24:25], v[158:159]
	v_fmac_f64_e32 v[22:23], v[94:95], v[156:157]
	s_waitcnt vmcnt(1)
	v_mul_f64 v[8:9], v[108:109], v[142:143]
	v_fma_f64 v[16:17], v[14:15], v[140:141], -v[8:9]
	ds_read_b64 v[8:9], v188
	v_mul_f64 v[14:15], v[14:15], v[142:143]
	v_fmac_f64_e32 v[14:15], v[108:109], v[140:141]
	ds_read2_b64 v[108:111], v179 offset0:53 offset1:178
	ds_read_b64 v[112:113], v165 offset:29000
	v_mul_f64 v[94:95], v[132:133], v[172:173]
	s_waitcnt lgkmcnt(2)
	v_mul_f64 v[24:25], v[8:9], v[172:173]
	v_fmac_f64_e32 v[94:95], v[8:9], v[170:171]
	s_waitcnt lgkmcnt(1)
	v_mul_f64 v[8:9], v[108:109], v[202:203]
	v_fma_f64 v[88:89], v[10:11], v[200:201], -v[8:9]
	ds_read2_b64 v[8:11], v134 offset0:2 offset1:252
	v_fmac_f64_e32 v[80:81], v[92:93], v[136:137]
	v_fma_f64 v[92:93], v[132:133], v[170:171], -v[24:25]
	v_mul_f64 v[24:25], v[110:111], v[206:207]
	v_fmac_f64_e32 v[84:85], v[108:109], v[200:201]
	v_fma_f64 v[24:25], v[12:13], v[204:205], -v[24:25]
	v_mul_f64 v[12:13], v[12:13], v[206:207]
	s_waitcnt vmcnt(0) lgkmcnt(0)
	v_mul_f64 v[108:109], v[10:11], v[146:147]
	v_fmac_f64_e32 v[12:13], v[110:111], v[204:205]
	v_fma_f64 v[108:109], v[6:7], v[144:145], -v[108:109]
	v_mul_f64 v[110:111], v[6:7], v[146:147]
	v_mul_f64 v[6:7], v[112:113], v[210:211]
	v_add_f64 v[114:115], v[40:41], v[32:33]
	v_fmac_f64_e32 v[110:111], v[10:11], v[144:145]
	v_fma_f64 v[10:11], v[130:131], v[208:209], -v[6:7]
	v_mul_f64 v[6:7], v[130:131], v[210:211]
	v_fma_f64 v[118:119], -0.5, v[114:115], v[4:5]
	v_add_f64 v[114:115], v[42:43], v[24:25]
	v_fmac_f64_e32 v[6:7], v[112:113], v[208:209]
	v_add_f64 v[112:113], v[4:5], v[42:43]
	v_fmac_f64_e32 v[4:5], -0.5, v[114:115]
	v_add_f64 v[114:115], v[40:41], -v[42:43]
	v_add_f64 v[116:117], v[32:33], -v[24:25]
	v_add_f64 v[120:121], v[114:115], v[116:117]
	v_add_f64 v[114:115], v[20:21], v[16:17]
	v_fma_f64 v[122:123], -0.5, v[114:115], v[36:37]
	v_add_f64 v[114:115], v[28:29], v[10:11]
	v_add_f64 v[130:131], v[36:37], v[28:29]
	v_fmac_f64_e32 v[36:37], -0.5, v[114:115]
	v_add_f64 v[114:115], v[20:21], -v[28:29]
	v_add_f64 v[116:117], v[16:17], -v[10:11]
	v_add_f64 v[134:135], v[114:115], v[116:117]
	v_add_f64 v[114:115], v[18:19], v[14:15]
	v_fma_f64 v[132:133], -0.5, v[114:115], v[34:35]
	v_add_f64 v[114:115], v[26:27], v[6:7]
	v_add_f64 v[150:151], v[18:19], -v[14:15]
	v_add_f64 v[138:139], v[34:35], v[26:27]
	v_fmac_f64_e32 v[34:35], -0.5, v[114:115]
	v_fma_f64 v[142:143], s[10:11], v[150:151], v[36:37]
	v_fmac_f64_e32 v[36:37], s[6:7], v[150:151]
	v_add_f64 v[148:149], v[26:27], -v[6:7]
	v_add_f64 v[146:147], v[20:21], -v[16:17]
	;; [unrolled: 1-line block ×5, first 2 shown]
	v_fmac_f64_e32 v[36:37], s[12:13], v[148:149]
	v_fma_f64 v[144:145], s[6:7], v[146:147], v[34:35]
	v_fmac_f64_e32 v[34:35], s[10:11], v[146:147]
	v_add_f64 v[152:153], v[28:29], -v[10:11]
	v_add_f64 v[140:141], v[114:115], v[116:117]
	v_fma_f64 v[136:137], s[10:11], v[158:159], v[4:5]
	v_fmac_f64_e32 v[4:5], s[6:7], v[158:159]
	v_add_f64 v[156:157], v[38:39], -v[12:13]
	v_fmac_f64_e32 v[36:37], s[8:9], v[134:135]
	v_fmac_f64_e32 v[34:35], s[2:3], v[152:153]
	;; [unrolled: 1-line block ×4, first 2 shown]
	v_mul_f64 v[114:115], v[36:37], s[8:9]
	v_fmac_f64_e32 v[4:5], s[8:9], v[120:121]
	v_fma_f64 v[114:115], v[34:35], s[6:7], -v[114:115]
	v_add_f64 v[116:117], v[4:5], v[114:115]
	v_add_f64 v[4:5], v[4:5], -v[114:115]
	v_add_f64 v[114:115], v[78:79], v[82:83]
	v_fma_f64 v[172:173], -0.5, v[114:115], v[2:3]
	v_add_f64 v[114:115], v[64:65], v[88:89]
	v_add_f64 v[200:201], v[2:3], v[64:65]
	v_fmac_f64_e32 v[2:3], -0.5, v[114:115]
	v_add_f64 v[114:115], v[78:79], -v[64:65]
	v_add_f64 v[124:125], v[82:83], -v[88:89]
	v_add_f64 v[202:203], v[114:115], v[124:125]
	v_add_f64 v[114:115], v[60:61], v[52:53]
	v_fma_f64 v[160:161], -0.5, v[114:115], v[108:109]
	v_add_f64 v[114:115], v[58:59], v[48:49]
	v_add_f64 v[204:205], v[108:109], v[58:59]
	v_fmac_f64_e32 v[108:109], -0.5, v[114:115]
	v_add_f64 v[114:115], v[60:61], -v[58:59]
	v_add_f64 v[124:125], v[52:53], -v[48:49]
	v_add_f64 v[206:207], v[114:115], v[124:125]
	v_add_f64 v[114:115], v[50:51], v[46:47]
	v_fma_f64 v[166:167], -0.5, v[114:115], v[110:111]
	v_add_f64 v[114:115], v[56:57], v[44:45]
	v_add_f64 v[208:209], v[110:111], v[56:57]
	v_fmac_f64_e32 v[110:111], -0.5, v[114:115]
	v_add_f64 v[114:115], v[50:51], -v[56:57]
	v_add_f64 v[124:125], v[46:47], -v[44:45]
	v_fma_f64 v[222:223], s[10:11], v[220:221], v[108:109]
	v_fmac_f64_e32 v[108:109], s[6:7], v[220:221]
	v_add_f64 v[224:225], v[56:57], -v[44:45]
	v_add_f64 v[210:211], v[114:115], v[124:125]
	v_add_f64 v[114:115], v[102:103], v[98:99]
	v_add_f64 v[216:217], v[74:75], -v[80:81]
	v_fmac_f64_e32 v[108:109], s[12:13], v[224:225]
	v_fma_f64 v[228:229], s[6:7], v[226:227], v[110:111]
	v_fmac_f64_e32 v[110:111], s[10:11], v[226:227]
	v_add_f64 v[230:231], v[58:59], -v[48:49]
	v_fma_f64 v[212:213], -0.5, v[114:115], v[0:1]
	v_add_f64 v[114:115], v[128:129], v[106:107]
	v_fma_f64 v[174:175], s[10:11], v[216:217], v[2:3]
	v_fmac_f64_e32 v[2:3], s[6:7], v[216:217]
	v_add_f64 v[218:219], v[62:63], -v[84:85]
	v_fmac_f64_e32 v[108:109], s[8:9], v[206:207]
	v_fmac_f64_e32 v[110:111], s[2:3], v[230:231]
	v_fma_f64 v[214:215], -0.5, v[114:115], v[0:1]
	v_fmac_f64_e32 v[2:3], s[12:13], v[218:219]
	v_fmac_f64_e32 v[110:111], s[8:9], v[210:211]
	v_mul_f64 v[114:115], v[108:109], s[8:9]
	v_fmac_f64_e32 v[2:3], s[8:9], v[202:203]
	v_fma_f64 v[114:115], v[110:111], s[6:7], -v[114:115]
	v_add_f64 v[124:125], v[2:3], v[114:115]
	v_add_f64 v[2:3], v[2:3], -v[114:115]
	v_add_f64 v[114:115], v[128:129], -v[102:103]
	;; [unrolled: 1-line block ×4, first 2 shown]
	v_add_f64 v[114:115], v[114:115], v[168:169]
	v_fma_f64 v[234:235], s[6:7], v[232:233], v[212:213]
	v_add_f64 v[168:169], v[100:101], -v[96:97]
	v_fmac_f64_e32 v[212:213], s[10:11], v[232:233]
	v_fmac_f64_e32 v[234:235], s[2:3], v[168:169]
	;; [unrolled: 1-line block ×5, first 2 shown]
	v_add_f64 v[114:115], v[102:103], -v[128:129]
	v_add_f64 v[170:171], v[98:99], -v[106:107]
	v_add_f64 v[114:115], v[114:115], v[170:171]
	v_fma_f64 v[236:237], s[10:11], v[168:169], v[214:215]
	v_fmac_f64_e32 v[214:215], s[6:7], v[168:169]
	ds_read2_b64 v[168:171], v165 offset1:125
	v_add_f64 v[0:1], v[0:1], v[128:129]
	v_mul_f64 v[110:111], v[110:111], s[8:9]
	v_add_f64 v[0:1], v[0:1], v[102:103]
	v_fma_f64 v[108:109], v[108:109], s[10:11], -v[110:111]
	v_add_f64 v[110:111], v[100:101], v[96:97]
	v_add_f64 v[0:1], v[0:1], v[98:99]
	s_waitcnt lgkmcnt(0)
	v_fma_f64 v[242:243], -0.5, v[110:111], v[168:169]
	v_add_f64 v[0:1], v[0:1], v[106:107]
	v_add_f64 v[106:107], v[128:129], -v[106:107]
	v_add_f64 v[98:99], v[102:103], -v[98:99]
	;; [unrolled: 1-line block ×4, first 2 shown]
	v_add_f64 v[110:111], v[90:91], v[104:105]
	v_add_f64 v[102:103], v[102:103], v[128:129]
	v_fma_f64 v[128:129], s[10:11], v[106:107], v[242:243]
	v_fmac_f64_e32 v[242:243], s[6:7], v[106:107]
	v_fma_f64 v[244:245], -0.5, v[110:111], v[168:169]
	v_add_f64 v[110:111], v[168:169], v[90:91]
	v_fmac_f64_e32 v[128:129], s[12:13], v[98:99]
	v_fmac_f64_e32 v[242:243], s[2:3], v[98:99]
	;; [unrolled: 1-line block ×4, first 2 shown]
	v_add_f64 v[102:103], v[110:111], v[100:101]
	v_add_f64 v[90:91], v[100:101], -v[90:91]
	v_add_f64 v[100:101], v[102:103], v[96:97]
	v_add_f64 v[96:97], v[96:97], -v[104:105]
	v_fma_f64 v[254:255], s[6:7], v[98:99], v[244:245]
	v_fmac_f64_e32 v[244:245], s[10:11], v[98:99]
	v_add_f64 v[90:91], v[90:91], v[96:97]
	v_fmac_f64_e32 v[254:255], s[12:13], v[106:107]
	v_fmac_f64_e32 v[244:245], s[2:3], v[106:107]
	;; [unrolled: 1-line block ×4, first 2 shown]
	v_add_f64 v[90:91], v[126:127], -v[70:71]
	v_add_f64 v[96:97], v[86:87], -v[72:73]
	v_add_f64 v[90:91], v[90:91], v[96:97]
	v_add_f64 v[96:97], v[70:71], v[72:73]
	v_fma_f64 v[96:97], -0.5, v[96:97], v[92:93]
	v_add_f64 v[98:99], v[54:55], -v[76:77]
	v_add_f64 v[252:253], v[100:101], v[104:105]
	v_fma_f64 v[100:101], s[6:7], v[98:99], v[96:97]
	v_add_f64 v[102:103], v[68:69], -v[66:67]
	v_fmac_f64_e32 v[96:97], s[10:11], v[98:99]
	v_fmac_f64_e32 v[100:101], s[2:3], v[102:103]
	;; [unrolled: 1-line block ×3, first 2 shown]
	v_add_f64 v[104:105], v[126:127], v[86:87]
	v_fmac_f64_e32 v[100:101], s[8:9], v[90:91]
	v_fmac_f64_e32 v[96:97], s[8:9], v[90:91]
	v_add_f64 v[90:91], v[92:93], v[126:127]
	v_fmac_f64_e32 v[92:93], -0.5, v[104:105]
	v_add_f64 v[104:105], v[70:71], -v[126:127]
	v_add_f64 v[106:107], v[72:73], -v[86:87]
	v_add_f64 v[104:105], v[104:105], v[106:107]
	v_fma_f64 v[106:107], s[10:11], v[102:103], v[92:93]
	v_fmac_f64_e32 v[92:93], s[6:7], v[102:103]
	v_add_f64 v[90:91], v[90:91], v[70:71]
	v_fmac_f64_e32 v[106:107], s[2:3], v[98:99]
	v_fmac_f64_e32 v[92:93], s[12:13], v[98:99]
	v_add_f64 v[90:91], v[90:91], v[72:73]
	v_add_f64 v[70:71], v[70:71], -v[72:73]
	v_add_f64 v[72:73], v[54:55], -v[68:69]
	;; [unrolled: 1-line block ×3, first 2 shown]
	v_add_f64 v[72:73], v[72:73], v[98:99]
	v_add_f64 v[98:99], v[68:69], v[66:67]
	;; [unrolled: 1-line block ×3, first 2 shown]
	v_add_f64 v[86:87], v[126:127], -v[86:87]
	v_fma_f64 v[98:99], -0.5, v[98:99], v[94:95]
	v_fma_f64 v[102:103], s[10:11], v[86:87], v[98:99]
	v_fmac_f64_e32 v[98:99], s[6:7], v[86:87]
	v_fmac_f64_e32 v[102:103], s[12:13], v[70:71]
	v_fmac_f64_e32 v[98:99], s[2:3], v[70:71]
	v_fmac_f64_e32 v[102:103], s[8:9], v[72:73]
	v_fmac_f64_e32 v[98:99], s[8:9], v[72:73]
	v_add_f64 v[72:73], v[94:95], v[54:55]
	v_fmac_f64_e32 v[106:107], s[8:9], v[104:105]
	v_fmac_f64_e32 v[92:93], s[8:9], v[104:105]
	v_add_f64 v[104:105], v[54:55], v[76:77]
	v_add_f64 v[72:73], v[72:73], v[68:69]
	v_fmac_f64_e32 v[94:95], -0.5, v[104:105]
	v_add_f64 v[54:55], v[68:69], -v[54:55]
	v_add_f64 v[68:69], v[72:73], v[66:67]
	v_add_f64 v[66:67], v[66:67], -v[76:77]
	v_add_f64 v[54:55], v[54:55], v[66:67]
	v_fma_f64 v[66:67], s[6:7], v[70:71], v[94:95]
	v_fmac_f64_e32 v[94:95], s[10:11], v[70:71]
	v_fmac_f64_e32 v[66:67], s[12:13], v[86:87]
	;; [unrolled: 1-line block ×4, first 2 shown]
	v_add_f64 v[104:105], v[68:69], v[76:77]
	v_fmac_f64_e32 v[94:95], s[8:9], v[54:55]
	v_mul_f64 v[68:69], v[66:67], s[6:7]
	v_fmac_f64_e32 v[68:69], s[8:9], v[106:107]
	v_mul_f64 v[106:107], v[106:107], s[10:11]
	v_mul_f64 v[72:73], v[94:95], s[8:9]
	v_fmac_f64_e32 v[106:107], s[8:9], v[66:67]
	v_mul_f64 v[66:67], v[92:93], s[8:9]
	v_fma_f64 v[92:93], v[92:93], s[10:11], -v[72:73]
	v_mul_f64 v[72:73], v[96:97], s[14:15]
	v_fma_f64 v[86:87], v[98:99], s[2:3], -v[72:73]
	;; [unrolled: 2-line block ×3, first 2 shown]
	v_add_f64 v[168:169], v[0:1], v[90:91]
	v_add_f64 v[72:73], v[0:1], -v[90:91]
	v_add_f64 v[96:97], v[254:255], v[106:107]
	v_add_f64 v[90:91], v[254:255], -v[106:107]
	v_add_f64 v[106:107], v[200:201], v[78:79]
	v_fmac_f64_e32 v[236:237], s[2:3], v[232:233]
	v_fmac_f64_e32 v[214:215], s[12:13], v[232:233]
	v_add_f64 v[246:247], v[78:79], -v[82:83]
	v_add_f64 v[250:251], v[64:65], -v[88:89]
	;; [unrolled: 1-line block ×3, first 2 shown]
	v_add_f64 v[78:79], v[106:107], v[82:83]
	v_add_f64 v[82:83], v[88:89], -v[82:83]
	v_fmac_f64_e32 v[236:237], s[8:9], v[114:115]
	v_fmac_f64_e32 v[214:215], s[8:9], v[114:115]
	v_add_f64 v[114:115], v[74:75], v[80:81]
	v_add_f64 v[64:65], v[64:65], v[82:83]
	v_fma_f64 v[82:83], s[6:7], v[218:219], v[172:173]
	v_fmac_f64_e32 v[172:173], s[10:11], v[218:219]
	v_fma_f64 v[232:233], -0.5, v[114:115], v[170:171]
	v_add_f64 v[238:239], v[170:171], v[62:63]
	v_add_f64 v[114:115], v[62:63], v[84:85]
	v_fmac_f64_e32 v[82:83], s[2:3], v[216:217]
	v_fmac_f64_e32 v[172:173], s[12:13], v[216:217]
	v_fmac_f64_e32 v[170:171], -0.5, v[114:115]
	v_add_f64 v[114:115], v[74:75], -v[62:63]
	v_add_f64 v[78:79], v[78:79], v[88:89]
	v_fmac_f64_e32 v[82:83], s[8:9], v[64:65]
	v_fmac_f64_e32 v[172:173], s[8:9], v[64:65]
	v_add_f64 v[64:65], v[238:239], v[74:75]
	v_add_f64 v[62:63], v[62:63], -v[74:75]
	v_add_f64 v[74:75], v[84:85], -v[80:81]
	v_fma_f64 v[88:89], s[10:11], v[250:251], v[232:233]
	v_fmac_f64_e32 v[232:233], s[6:7], v[250:251]
	v_add_f64 v[62:63], v[62:63], v[74:75]
	v_fmac_f64_e32 v[88:89], s[12:13], v[246:247]
	v_fmac_f64_e32 v[232:233], s[2:3], v[246:247]
	;; [unrolled: 1-line block ×4, first 2 shown]
	v_add_f64 v[62:63], v[204:205], v[60:61]
	v_add_f64 v[58:59], v[58:59], -v[60:61]
	v_add_f64 v[60:61], v[62:63], v[52:53]
	v_add_f64 v[60:61], v[60:61], v[48:49]
	v_add_f64 v[48:49], v[48:49], -v[52:53]
	v_fma_f64 v[52:53], s[6:7], v[224:225], v[160:161]
	v_fmac_f64_e32 v[160:161], s[10:11], v[224:225]
	v_add_f64 v[48:49], v[58:59], v[48:49]
	v_fmac_f64_e32 v[52:53], s[2:3], v[220:221]
	v_fmac_f64_e32 v[160:161], s[12:13], v[220:221]
	;; [unrolled: 1-line block ×4, first 2 shown]
	v_add_f64 v[48:49], v[208:209], v[50:51]
	v_add_f64 v[48:49], v[48:49], v[46:47]
	v_add_f64 v[50:51], v[56:57], -v[50:51]
	v_add_f64 v[48:49], v[48:49], v[44:45]
	v_add_f64 v[44:45], v[44:45], -v[46:47]
	v_fma_f64 v[46:47], s[10:11], v[230:231], v[166:167]
	v_add_f64 v[44:45], v[50:51], v[44:45]
	v_fmac_f64_e32 v[46:47], s[12:13], v[226:227]
	v_fmac_f64_e32 v[166:167], s[6:7], v[230:231]
	;; [unrolled: 1-line block ×6, first 2 shown]
	v_add_f64 v[240:241], v[80:81], -v[84:85]
	v_fma_f64 v[248:249], s[6:7], v[246:247], v[170:171]
	v_fmac_f64_e32 v[170:171], s[10:11], v[246:247]
	v_fmac_f64_e32 v[222:223], s[8:9], v[206:207]
	;; [unrolled: 1-line block ×4, first 2 shown]
	v_mul_f64 v[44:45], v[46:47], s[2:3]
	v_mul_f64 v[50:51], v[52:53], s[12:13]
	v_add_f64 v[240:241], v[114:115], v[240:241]
	v_fmac_f64_e32 v[170:171], s[2:3], v[250:251]
	v_mul_f64 v[54:55], v[102:103], s[2:3]
	v_mul_f64 v[70:71], v[100:101], s[12:13]
	v_fmac_f64_e32 v[174:175], s[2:3], v[218:219]
	v_add_f64 v[64:65], v[64:65], v[80:81]
	v_fmac_f64_e32 v[248:249], s[12:13], v[250:251]
	v_fmac_f64_e32 v[44:45], s[14:15], v[52:53]
	;; [unrolled: 1-line block ×3, first 2 shown]
	v_mul_f64 v[46:47], v[228:229], s[6:7]
	v_mul_f64 v[52:53], v[222:223], s[10:11]
	;; [unrolled: 1-line block ×4, first 2 shown]
	v_fmac_f64_e32 v[170:171], s[8:9], v[240:241]
	v_fmac_f64_e32 v[54:55], s[14:15], v[100:101]
	;; [unrolled: 1-line block ×3, first 2 shown]
	v_fma_f64 v[66:67], v[94:95], s[6:7], -v[66:67]
	v_fmac_f64_e32 v[174:175], s[8:9], v[202:203]
	v_add_f64 v[64:65], v[64:65], v[84:85]
	v_fmac_f64_e32 v[248:249], s[8:9], v[240:241]
	v_fmac_f64_e32 v[46:47], s[8:9], v[222:223]
	;; [unrolled: 1-line block ×3, first 2 shown]
	v_fma_f64 v[56:57], v[166:167], s[2:3], -v[56:57]
	v_fma_f64 v[62:63], v[160:161], s[12:13], -v[58:59]
	v_add_f64 v[114:115], v[170:171], v[108:109]
	v_add_f64 v[108:109], v[170:171], -v[108:109]
	v_add_f64 v[170:171], v[234:235], v[54:55]
	v_add_f64 v[0:1], v[234:235], -v[54:55]
	;; [unrolled: 2-line block ×14, first 2 shown]
	v_add_f64 v[62:63], v[42:43], -v[40:41]
	v_add_f64 v[64:65], v[24:25], -v[32:33]
	v_add_f64 v[62:63], v[62:63], v[64:65]
	v_fma_f64 v[64:65], s[6:7], v[156:157], v[118:119]
	v_fmac_f64_e32 v[118:119], s[10:11], v[156:157]
	v_fmac_f64_e32 v[64:65], s[2:3], v[158:159]
	;; [unrolled: 1-line block ×5, first 2 shown]
	v_add_f64 v[62:63], v[112:113], v[40:41]
	v_add_f64 v[62:63], v[62:63], v[32:33]
	;; [unrolled: 1-line block ×3, first 2 shown]
	v_add_f64 v[24:25], v[42:43], -v[24:25]
	v_add_f64 v[32:33], v[40:41], -v[32:33]
	;; [unrolled: 1-line block ×4, first 2 shown]
	v_fmac_f64_e32 v[136:137], s[2:3], v[156:157]
	v_add_f64 v[40:41], v[40:41], v[42:43]
	v_add_f64 v[42:43], v[30:31], v[22:23]
	v_fmac_f64_e32 v[136:137], s[8:9], v[120:121]
	v_fma_f64 v[120:121], -0.5, v[42:43], v[8:9]
	v_fma_f64 v[42:43], s[10:11], v[24:25], v[120:121]
	v_fmac_f64_e32 v[120:121], s[6:7], v[24:25]
	v_fmac_f64_e32 v[42:43], s[12:13], v[32:33]
	;; [unrolled: 1-line block ×5, first 2 shown]
	v_add_f64 v[40:41], v[8:9], v[38:39]
	v_add_f64 v[40:41], v[40:41], v[30:31]
	;; [unrolled: 1-line block ×3, first 2 shown]
	v_add_f64 v[30:31], v[30:31], -v[38:39]
	v_add_f64 v[38:39], v[40:41], v[22:23]
	v_fmac_f64_e32 v[8:9], -0.5, v[88:89]
	v_add_f64 v[38:39], v[38:39], v[12:13]
	v_add_f64 v[12:13], v[22:23], -v[12:13]
	v_add_f64 v[12:13], v[30:31], v[12:13]
	v_fma_f64 v[30:31], s[6:7], v[32:33], v[8:9]
	v_fmac_f64_e32 v[8:9], s[10:11], v[32:33]
	v_fmac_f64_e32 v[30:31], s[12:13], v[24:25]
	;; [unrolled: 1-line block ×5, first 2 shown]
	v_add_f64 v[12:13], v[130:131], v[20:21]
	v_add_f64 v[12:13], v[12:13], v[16:17]
	v_add_f64 v[20:21], v[28:29], -v[20:21]
	v_add_f64 v[12:13], v[12:13], v[10:11]
	v_add_f64 v[10:11], v[10:11], -v[16:17]
	v_fma_f64 v[16:17], s[6:7], v[148:149], v[122:123]
	v_fmac_f64_e32 v[122:123], s[10:11], v[148:149]
	v_add_f64 v[10:11], v[20:21], v[10:11]
	v_fmac_f64_e32 v[16:17], s[2:3], v[150:151]
	v_fmac_f64_e32 v[122:123], s[12:13], v[150:151]
	;; [unrolled: 1-line block ×4, first 2 shown]
	v_add_f64 v[10:11], v[138:139], v[18:19]
	v_add_f64 v[10:11], v[10:11], v[14:15]
	v_add_f64 v[18:19], v[26:27], -v[18:19]
	v_add_f64 v[24:25], v[10:11], v[6:7]
	v_add_f64 v[6:7], v[6:7], -v[14:15]
	v_fma_f64 v[10:11], s[10:11], v[152:153], v[132:133]
	v_add_f64 v[6:7], v[18:19], v[6:7]
	v_fmac_f64_e32 v[10:11], s[12:13], v[146:147]
	v_fmac_f64_e32 v[132:133], s[6:7], v[152:153]
	;; [unrolled: 1-line block ×4, first 2 shown]
	v_mul_f64 v[14:15], v[34:35], s[8:9]
	v_fmac_f64_e32 v[132:133], s[8:9], v[6:7]
	v_fmac_f64_e32 v[144:145], s[12:13], v[152:153]
	v_mul_f64 v[6:7], v[10:11], s[2:3]
	v_mul_f64 v[26:27], v[16:17], s[12:13]
	v_fma_f64 v[32:33], v[36:37], s[10:11], -v[14:15]
	v_mul_f64 v[14:15], v[122:123], s[14:15]
	v_fmac_f64_e32 v[142:143], s[2:3], v[148:149]
	v_fmac_f64_e32 v[144:145], s[8:9], v[140:141]
	v_fmac_f64_e32 v[6:7], s[14:15], v[16:17]
	v_fmac_f64_e32 v[26:27], s[14:15], v[10:11]
	v_fma_f64 v[34:35], v[132:133], s[2:3], -v[14:15]
	v_mul_f64 v[14:15], v[132:133], s[14:15]
	s_movk_i32 s14, 0x4a
	v_fmac_f64_e32 v[142:143], s[8:9], v[134:135]
	v_mul_f64 v[10:11], v[144:145], s[6:7]
	v_add_f64 v[88:89], v[8:9], v[32:33]
	v_add_f64 v[106:107], v[8:9], -v[32:33]
	v_mov_b32_e32 v8, 0x1770
	v_cmp_lt_u32_e32 vcc, s14, v164
	v_fmac_f64_e32 v[10:11], s[8:9], v[142:143]
	v_fma_f64 v[122:123], v[122:123], s[12:13], -v[14:15]
	v_cndmask_b32_e32 v8, 0, v8, vcc
	v_lshlrev_b32_e32 v9, 3, v196
	v_add_f64 v[18:19], v[136:137], v[10:11]
	v_add_f64 v[16:17], v[118:119], v[34:35]
	v_add_f64 v[14:15], v[136:137], -v[10:11]
	v_add_f64 v[10:11], v[118:119], -v[34:35]
	v_add_f64 v[112:113], v[120:121], v[122:123]
	v_add_f64 v[118:119], v[120:121], -v[122:123]
	v_add3_u32 v120, 0, v8, v9
	v_add_u32_e32 v122, 0xc00, v120
	s_barrier
	ds_write2_b64 v120, v[168:169], v[170:171] offset1:75
	ds_write2_b64 v120, v[110:111], v[126:127] offset0:150 offset1:225
	ds_write2_b64 v122, v[0:1], v[76:77] offset0:66 offset1:141
	v_mul_u32_u24_e32 v0, 0x1770, v197
	v_lshlrev_b32_sdwa v1, v195, v154 dst_sel:DWORD dst_unused:UNUSED_PAD src0_sel:DWORD src1_sel:BYTE_0
	v_add_f64 v[102:103], v[212:213], v[86:87]
	v_add_f64 v[86:87], v[212:213], -v[86:87]
	v_add_u32_e32 v121, 0x800, v120
	v_add_u32_e32 v123, 0x1000, v120
	v_add3_u32 v130, 0, v0, v1
	v_mul_u32_u24_e32 v0, 0x1770, v198
	v_lshlrev_b32_e32 v1, 3, v199
	v_mul_f64 v[28:29], v[142:143], s[10:11]
	v_add_f64 v[20:21], v[62:63], v[12:13]
	v_add_f64 v[22:23], v[64:65], v[6:7]
	ds_write2_b64 v121, v[102:103], v[72:73] offset0:44 offset1:119
	ds_write2_b64 v123, v[68:69], v[86:87] offset0:88 offset1:163
	ds_write2_b64 v130, v[160:161], v[166:167] offset1:75
	ds_write2_b64 v130, v[128:129], v[124:125] offset0:150 offset1:225
	v_add_u32_e32 v124, 0x800, v130
	v_add_u32_e32 v125, 0xc00, v130
	;; [unrolled: 1-line block ×3, first 2 shown]
	v_add3_u32 v129, 0, v0, v1
	v_fmac_f64_e32 v[28:29], s[8:9], v[144:145]
	v_add_f64 v[12:13], v[62:63], -v[12:13]
	v_add_f64 v[6:7], v[64:65], -v[6:7]
	ds_write2_b64 v124, v[84:85], v[80:81] offset0:44 offset1:119
	ds_write2_b64 v125, v[74:75], v[82:83] offset0:66 offset1:141
	;; [unrolled: 1-line block ×3, first 2 shown]
	ds_write2_b64 v129, v[20:21], v[22:23] offset1:75
	ds_write2_b64 v129, v[18:19], v[116:117] offset0:150 offset1:225
	v_add_u32_e32 v116, 0x800, v129
	v_add_u32_e32 v117, 0xc00, v129
	;; [unrolled: 1-line block ×3, first 2 shown]
	v_add_f64 v[36:37], v[38:39], v[24:25]
	v_add_f64 v[40:41], v[42:43], v[26:27]
	v_add_f64 v[38:39], v[38:39], -v[24:25]
	v_add_f64 v[62:63], v[30:31], v[28:29]
	v_add_f64 v[42:43], v[42:43], -v[26:27]
	v_add_f64 v[64:65], v[30:31], -v[28:29]
	ds_write2_b64 v116, v[16:17], v[12:13] offset0:44 offset1:119
	ds_write2_b64 v117, v[6:7], v[14:15] offset0:66 offset1:141
	;; [unrolled: 1-line block ×3, first 2 shown]
	s_waitcnt lgkmcnt(0)
	s_barrier
	ds_read2_b64 v[0:3], v165 offset1:125
	ds_read2_b64 v[12:15], v191 offset0:113 offset1:238
	ds_read2_b64 v[8:11], v192 offset0:95 offset1:220
	;; [unrolled: 1-line block ×8, first 2 shown]
	ds_read_b64 v[126:127], v165 offset:2000
	ds_read2_b64 v[80:83], v184 offset0:101 offset1:226
	ds_read2_b64 v[76:79], v187 offset0:83 offset1:208
	;; [unrolled: 1-line block ×4, first 2 shown]
	ds_read_b64 v[102:103], v190
	ds_read_b64 v[110:111], v188
	ds_read_b64 v[68:69], v165 offset:29000
	v_add_f64 v[98:99], v[244:245], v[92:93]
	v_add_f64 v[70:71], v[244:245], -v[92:93]
	v_add_f64 v[94:95], v[242:243], v[162:163]
	v_add_f64 v[92:93], v[242:243], -v[162:163]
	s_waitcnt lgkmcnt(0)
	s_barrier
	ds_write2_b64 v120, v[100:101], v[104:105] offset1:75
	ds_write2_b64 v120, v[96:97], v[98:99] offset0:150 offset1:225
	ds_write2_b64 v121, v[94:95], v[66:67] offset0:44 offset1:119
	ds_write2_b64 v122, v[54:55], v[90:91] offset0:66 offset1:141
	ds_write2_b64 v123, v[70:71], v[92:93] offset0:88 offset1:163
	ds_write2_b64 v130, v[58:59], v[60:61] offset1:75
	ds_write2_b64 v130, v[56:57], v[114:115] offset0:150 offset1:225
	ds_write2_b64 v124, v[52:53], v[44:45] offset0:44 offset1:119
	ds_write2_b64 v125, v[46:47], v[48:49] offset0:66 offset1:141
	ds_write2_b64 v128, v[108:109], v[50:51] offset0:88 offset1:163
	;; [unrolled: 5-line block ×3, first 2 shown]
	s_waitcnt lgkmcnt(0)
	s_barrier
	s_and_saveexec_b64 s[14:15], s[0:1]
	s_cbranch_execz .LBB0_13
; %bb.12:
	v_lshlrev_b32_e32 v154, 2, v177
	v_lshl_add_u64 v[36:37], v[154:155], 4, s[4:5]
	s_mov_b64 s[0:1], 0x2eb0
	v_lshl_add_u64 v[38:39], v[36:37], 0, s[0:1]
	v_add_co_u32_e32 v36, vcc, 0x2000, v36
	global_load_dwordx4 v[52:55], v[38:39], off offset:32
	global_load_dwordx4 v[64:67], v[38:39], off offset:16
	v_addc_co_u32_e32 v37, vcc, 0, v37, vcc
	global_load_dwordx4 v[56:59], v[36:37], off offset:3760
	global_load_dwordx4 v[60:63], v[38:39], off offset:48
	v_lshlrev_b32_e32 v154, 2, v176
	v_lshl_add_u64 v[70:71], v[154:155], 4, s[4:5]
	v_lshl_add_u64 v[100:101], v[70:71], 0, s[0:1]
	v_add_co_u32_e32 v70, vcc, s17, v70
	ds_read2_b64 v[36:39], v194 offset0:77 offset1:202
	ds_read2_b64 v[40:43], v192 offset0:95 offset1:220
	;; [unrolled: 1-line block ×4, first 2 shown]
	ds_read_b64 v[104:105], v190
	ds_read_b64 v[106:107], v188
	v_addc_co_u32_e32 v71, vcc, 0, v71, vcc
	global_load_dwordx4 v[88:91], v[100:101], off offset:32
	global_load_dwordx4 v[92:95], v[100:101], off offset:16
	;; [unrolled: 1-line block ×3, first 2 shown]
	ds_read_b64 v[70:71], v165 offset:29000
	ds_read_b64 v[114:115], v165 offset:2000
	global_load_dwordx4 v[116:119], v[100:101], off offset:48
	v_lshlrev_b32_e32 v154, 2, v182
	ds_read2_b64 v[132:135], v186 offset0:65 offset1:190
	ds_read2_b64 v[136:139], v185 offset0:47 offset1:172
	s_waitcnt vmcnt(7) lgkmcnt(7)
	v_mul_f64 v[108:109], v[52:53], v[44:45]
	s_waitcnt vmcnt(6)
	v_mul_f64 v[100:101], v[64:65], v[36:37]
	v_mul_f64 v[36:37], v[66:67], v[36:37]
	;; [unrolled: 1-line block ×3, first 2 shown]
	v_fmac_f64_e32 v[100:101], v[4:5], v[66:67]
	s_waitcnt vmcnt(5)
	v_mul_f64 v[112:113], v[56:57], v[40:41]
	v_fmac_f64_e32 v[108:109], v[16:17], v[54:55]
	s_waitcnt vmcnt(4) lgkmcnt(3)
	v_mul_f64 v[120:121], v[60:61], v[70:71]
	v_mul_f64 v[40:41], v[58:59], v[40:41]
	;; [unrolled: 1-line block ×3, first 2 shown]
	v_fma_f64 v[4:5], v[4:5], v[64:65], -v[36:37]
	v_fma_f64 v[16:17], v[16:17], v[52:53], -v[44:45]
	v_fmac_f64_e32 v[112:113], v[8:9], v[58:59]
	v_fmac_f64_e32 v[120:121], v[68:69], v[62:63]
	v_fma_f64 v[8:9], v[8:9], v[56:57], -v[40:41]
	v_fma_f64 v[36:37], v[68:69], v[60:61], -v[54:55]
	v_add_f64 v[44:45], v[100:101], v[108:109]
	v_add_f64 v[52:53], v[100:101], -v[112:113]
	v_add_f64 v[54:55], v[108:109], -v[120:121]
	v_add_f64 v[64:65], v[8:9], -v[36:37]
	v_add_f64 v[56:57], v[112:113], v[120:121]
	v_fma_f64 v[66:67], -0.5, v[44:45], v[48:49]
	v_add_f64 v[44:45], v[112:113], v[48:49]
	v_add_f64 v[40:41], v[4:5], -v[16:17]
	v_add_f64 v[58:59], v[112:113], -v[100:101]
	;; [unrolled: 1-line block ×3, first 2 shown]
	v_add_f64 v[52:53], v[52:53], v[54:55]
	v_fma_f64 v[62:63], -0.5, v[56:57], v[48:49]
	v_fma_f64 v[54:55], s[6:7], v[64:65], v[66:67]
	v_fmac_f64_e32 v[66:67], s[10:11], v[64:65]
	v_add_f64 v[44:45], v[100:101], v[44:45]
	v_add_f64 v[70:71], v[4:5], -v[8:9]
	v_add_f64 v[124:125], v[8:9], v[36:37]
	v_add_f64 v[128:129], v[8:9], -v[4:5]
	v_add_f64 v[48:49], v[58:59], v[60:61]
	v_fma_f64 v[58:59], s[10:11], v[40:41], v[62:63]
	v_fmac_f64_e32 v[62:63], s[6:7], v[40:41]
	v_fmac_f64_e32 v[54:55], s[2:3], v[40:41]
	;; [unrolled: 1-line block ×3, first 2 shown]
	v_add_f64 v[40:41], v[108:109], v[44:45]
	v_add_f64 v[44:45], v[4:5], v[16:17]
	;; [unrolled: 1-line block ×3, first 2 shown]
	v_add_f64 v[122:123], v[16:17], -v[36:37]
	v_add_f64 v[112:113], v[112:113], -v[120:121]
	v_fmac_f64_e32 v[58:59], s[2:3], v[64:65]
	v_fmac_f64_e32 v[62:63], s[12:13], v[64:65]
	v_fma_f64 v[64:65], -0.5, v[44:45], v[12:13]
	v_add_f64 v[4:5], v[4:5], v[8:9]
	v_add_f64 v[68:69], v[100:101], -v[108:109]
	v_add_f64 v[100:101], v[70:71], v[122:123]
	v_fma_f64 v[60:61], -0.5, v[124:125], v[12:13]
	v_add_f64 v[70:71], v[120:121], v[40:41]
	v_fmac_f64_e32 v[58:59], s[8:9], v[52:53]
	v_fmac_f64_e32 v[62:63], s[8:9], v[52:53]
	v_add_f64 v[40:41], v[36:37], -v[16:17]
	v_fma_f64 v[52:53], s[10:11], v[112:113], v[64:65]
	v_fmac_f64_e32 v[64:65], s[6:7], v[112:113]
	v_add_f64 v[4:5], v[4:5], v[16:17]
	v_fma_f64 v[56:57], s[6:7], v[68:69], v[60:61]
	v_fmac_f64_e32 v[60:61], s[10:11], v[68:69]
	v_add_f64 v[40:41], v[128:129], v[40:41]
	v_fmac_f64_e32 v[52:53], s[12:13], v[68:69]
	v_fmac_f64_e32 v[64:65], s[2:3], v[68:69]
	v_add_f64 v[68:69], v[4:5], v[36:37]
	v_lshl_add_u64 v[36:37], v[154:155], 4, s[4:5]
	v_fmac_f64_e32 v[52:53], s[8:9], v[40:41]
	v_fmac_f64_e32 v[64:65], s[8:9], v[40:41]
	v_lshl_add_u64 v[40:41], v[36:37], 0, s[0:1]
	v_add_co_u32_e32 v36, vcc, s17, v36
	ds_read2_b64 v[120:123], v187 offset0:83 offset1:208
	s_nop 0
	v_addc_co_u32_e32 v37, vcc, 0, v37, vcc
	ds_read2_b64 v[128:131], v184 offset0:101 offset1:226
	global_load_dwordx4 v[140:143], v[40:41], off offset:32
	global_load_dwordx4 v[144:147], v[40:41], off offset:16
	;; [unrolled: 1-line block ×4, first 2 shown]
	s_waitcnt vmcnt(4) lgkmcnt(2)
	v_mul_f64 v[36:37], v[116:117], v[138:139]
	s_waitcnt lgkmcnt(0)
	v_mul_f64 v[8:9], v[96:97], v[130:131]
	v_fmac_f64_e32 v[8:9], v[82:83], v[98:99]
	v_fmac_f64_e32 v[36:37], v[86:87], v[118:119]
	v_mul_f64 v[40:41], v[98:99], v[130:131]
	v_mul_f64 v[4:5], v[92:93], v[122:123]
	;; [unrolled: 1-line block ×3, first 2 shown]
	v_fma_f64 v[40:41], v[82:83], v[96:97], -v[40:41]
	v_add_f64 v[82:83], v[8:9], v[36:37]
	v_fmac_f64_e32 v[4:5], v[78:79], v[94:95]
	v_fmac_f64_e32 v[16:17], v[74:75], v[90:91]
	v_fma_f64 v[96:97], -0.5, v[82:83], v[104:105]
	v_mul_f64 v[82:83], v[94:95], v[122:123]
	v_add_f64 v[12:13], v[4:5], -v[8:9]
	v_add_f64 v[44:45], v[16:17], -v[36:37]
	v_fma_f64 v[78:79], v[78:79], v[92:93], -v[82:83]
	v_mul_f64 v[82:83], v[90:91], v[134:135]
	v_add_f64 v[12:13], v[12:13], v[44:45]
	v_mul_f64 v[44:45], v[118:119], v[138:139]
	v_fma_f64 v[74:75], v[74:75], v[88:89], -v[82:83]
	v_fma_f64 v[44:45], v[86:87], v[116:117], -v[44:45]
	v_add_f64 v[82:83], v[78:79], -v[74:75]
	v_fmac_f64_e32 v[54:55], s[8:9], v[48:49]
	v_fmac_f64_e32 v[66:67], s[8:9], v[48:49]
	v_add_f64 v[48:49], v[40:41], -v[44:45]
	v_fma_f64 v[88:89], s[10:11], v[82:83], v[96:97]
	v_fmac_f64_e32 v[96:97], s[6:7], v[82:83]
	v_fmac_f64_e32 v[88:89], s[2:3], v[48:49]
	;; [unrolled: 1-line block ×5, first 2 shown]
	v_add_f64 v[12:13], v[8:9], -v[4:5]
	v_add_f64 v[86:87], v[36:37], -v[16:17]
	v_fmac_f64_e32 v[56:57], s[12:13], v[112:113]
	v_fmac_f64_e32 v[60:61], s[2:3], v[112:113]
	v_add_f64 v[12:13], v[12:13], v[86:87]
	v_add_f64 v[86:87], v[4:5], v[16:17]
	v_fmac_f64_e32 v[56:57], s[8:9], v[100:101]
	v_fmac_f64_e32 v[60:61], s[8:9], v[100:101]
	v_fma_f64 v[100:101], -0.5, v[86:87], v[104:105]
	v_fma_f64 v[92:93], s[6:7], v[48:49], v[100:101]
	v_fmac_f64_e32 v[100:101], s[10:11], v[48:49]
	v_fmac_f64_e32 v[92:93], s[2:3], v[82:83]
	;; [unrolled: 1-line block ×5, first 2 shown]
	v_add_f64 v[12:13], v[8:9], v[104:105]
	v_add_f64 v[12:13], v[4:5], v[12:13]
	;; [unrolled: 1-line block ×4, first 2 shown]
	v_add_f64 v[12:13], v[78:79], -v[40:41]
	v_add_f64 v[48:49], v[74:75], -v[44:45]
	v_add_f64 v[12:13], v[12:13], v[48:49]
	v_add_f64 v[48:49], v[40:41], v[44:45]
	v_fma_f64 v[94:95], -0.5, v[48:49], v[102:103]
	v_add_f64 v[4:5], v[4:5], -v[16:17]
	v_fma_f64 v[86:87], s[6:7], v[4:5], v[94:95]
	v_add_f64 v[8:9], v[8:9], -v[36:37]
	v_fmac_f64_e32 v[94:95], s[10:11], v[4:5]
	v_fmac_f64_e32 v[86:87], s[12:13], v[8:9]
	;; [unrolled: 1-line block ×5, first 2 shown]
	v_add_f64 v[12:13], v[40:41], -v[78:79]
	v_add_f64 v[16:17], v[44:45], -v[74:75]
	v_add_f64 v[12:13], v[12:13], v[16:17]
	v_add_f64 v[16:17], v[78:79], v[74:75]
	v_fma_f64 v[98:99], -0.5, v[16:17], v[102:103]
	v_fma_f64 v[90:91], s[10:11], v[8:9], v[98:99]
	v_fmac_f64_e32 v[98:99], s[6:7], v[8:9]
	v_lshlrev_b32_e32 v154, 2, v189
	v_fmac_f64_e32 v[90:91], s[12:13], v[4:5]
	v_fmac_f64_e32 v[98:99], s[2:3], v[4:5]
	v_lshl_add_u64 v[8:9], v[154:155], 4, s[4:5]
	v_fmac_f64_e32 v[90:91], s[8:9], v[12:13]
	v_fmac_f64_e32 v[98:99], s[8:9], v[12:13]
	v_lshl_add_u64 v[12:13], v[8:9], 0, s[0:1]
	v_add_co_u32_e32 v8, vcc, s17, v8
	v_add_f64 v[4:5], v[102:103], v[40:41]
	s_nop 0
	v_addc_co_u32_e32 v9, vcc, 0, v9, vcc
	s_waitcnt vmcnt(0)
	v_mul_f64 v[40:41], v[156:157], v[136:137]
	global_load_dwordx4 v[116:119], v[12:13], off offset:32
	global_load_dwordx4 v[122:125], v[12:13], off offset:16
	global_load_dwordx4 v[166:169], v[8:9], off offset:3760
	v_fmac_f64_e32 v[40:41], v[84:85], v[158:159]
	v_mul_f64 v[48:49], v[158:159], v[136:137]
	global_load_dwordx4 v[158:161], v[12:13], off offset:48
	v_add_f64 v[4:5], v[78:79], v[4:5]
	v_mul_f64 v[8:9], v[148:149], v[128:129]
	v_add_f64 v[4:5], v[4:5], v[74:75]
	v_fmac_f64_e32 v[8:9], v[80:81], v[150:151]
	v_add_f64 v[102:103], v[4:5], v[44:45]
	v_mul_f64 v[4:5], v[144:145], v[120:121]
	v_mul_f64 v[36:37], v[140:141], v[132:133]
	v_add_f64 v[74:75], v[8:9], v[40:41]
	v_fmac_f64_e32 v[4:5], v[76:77], v[146:147]
	v_fmac_f64_e32 v[36:37], v[72:73], v[142:143]
	v_fma_f64 v[82:83], -0.5, v[74:75], v[106:107]
	v_mul_f64 v[74:75], v[146:147], v[120:121]
	v_add_f64 v[16:17], v[4:5], -v[8:9]
	v_add_f64 v[44:45], v[36:37], -v[40:41]
	v_fma_f64 v[12:13], v[84:85], v[156:157], -v[48:49]
	v_fma_f64 v[84:85], v[76:77], v[144:145], -v[74:75]
	v_mul_f64 v[74:75], v[142:143], v[132:133]
	v_add_f64 v[16:17], v[16:17], v[44:45]
	v_mul_f64 v[44:45], v[150:151], v[128:129]
	v_fma_f64 v[120:121], v[72:73], v[140:141], -v[74:75]
	v_fma_f64 v[44:45], v[80:81], v[148:149], -v[44:45]
	v_add_f64 v[72:73], v[84:85], -v[120:121]
	v_add_f64 v[48:49], v[44:45], -v[12:13]
	v_fma_f64 v[74:75], s[10:11], v[72:73], v[82:83]
	v_fmac_f64_e32 v[82:83], s[6:7], v[72:73]
	v_fmac_f64_e32 v[74:75], s[2:3], v[48:49]
	;; [unrolled: 1-line block ×5, first 2 shown]
	v_add_f64 v[16:17], v[8:9], -v[4:5]
	v_add_f64 v[76:77], v[40:41], -v[36:37]
	v_add_f64 v[16:17], v[16:17], v[76:77]
	v_add_f64 v[76:77], v[4:5], v[36:37]
	v_fma_f64 v[108:109], -0.5, v[76:77], v[106:107]
	v_fma_f64 v[78:79], s[6:7], v[48:49], v[108:109]
	v_fmac_f64_e32 v[108:109], s[10:11], v[48:49]
	v_fmac_f64_e32 v[78:79], s[2:3], v[72:73]
	;; [unrolled: 1-line block ×5, first 2 shown]
	v_add_f64 v[16:17], v[8:9], v[106:107]
	v_add_f64 v[16:17], v[4:5], v[16:17]
	;; [unrolled: 1-line block ×4, first 2 shown]
	v_add_f64 v[16:17], v[84:85], -v[44:45]
	v_add_f64 v[48:49], v[120:121], -v[12:13]
	v_add_f64 v[16:17], v[16:17], v[48:49]
	v_add_f64 v[48:49], v[44:45], v[12:13]
	v_fma_f64 v[80:81], -0.5, v[48:49], v[110:111]
	v_add_f64 v[4:5], v[4:5], -v[36:37]
	v_fma_f64 v[72:73], s[6:7], v[4:5], v[80:81]
	v_add_f64 v[8:9], v[8:9], -v[40:41]
	v_fmac_f64_e32 v[80:81], s[10:11], v[4:5]
	v_fmac_f64_e32 v[72:73], s[12:13], v[8:9]
	;; [unrolled: 1-line block ×5, first 2 shown]
	v_add_f64 v[16:17], v[44:45], -v[84:85]
	v_add_f64 v[36:37], v[12:13], -v[120:121]
	v_add_f64 v[16:17], v[16:17], v[36:37]
	v_add_f64 v[36:37], v[84:85], v[120:121]
	v_fma_f64 v[106:107], -0.5, v[36:37], v[110:111]
	ds_read2_b64 v[130:133], v181 offset0:89 offset1:214
	ds_read2_b64 v[138:141], v178 offset0:107 offset1:232
	;; [unrolled: 1-line block ×4, first 2 shown]
	v_fma_f64 v[76:77], s[10:11], v[8:9], v[106:107]
	v_fmac_f64_e32 v[106:107], s[6:7], v[8:9]
	v_fmac_f64_e32 v[76:77], s[12:13], v[4:5]
	;; [unrolled: 1-line block ×3, first 2 shown]
	v_add_f64 v[4:5], v[110:111], v[44:45]
	v_lshlrev_b32_e32 v154, 2, v183
	v_add_f64 v[4:5], v[84:85], v[4:5]
	v_lshl_add_u64 v[36:37], v[154:155], 4, s[4:5]
	v_add_f64 v[4:5], v[4:5], v[120:121]
	v_lshl_add_u64 v[40:41], v[36:37], 0, s[0:1]
	v_add_co_u32_e32 v36, vcc, s17, v36
	v_fmac_f64_e32 v[76:77], s[8:9], v[16:17]
	v_fmac_f64_e32 v[106:107], s[8:9], v[16:17]
	v_add_f64 v[110:111], v[4:5], v[12:13]
	s_waitcnt vmcnt(2) lgkmcnt(3)
	v_mul_f64 v[4:5], v[122:123], v[132:133]
	s_waitcnt vmcnt(1) lgkmcnt(2)
	v_mul_f64 v[8:9], v[166:167], v[140:141]
	s_waitcnt lgkmcnt(1)
	v_mul_f64 v[16:17], v[116:117], v[136:137]
	v_addc_co_u32_e32 v37, vcc, 0, v37, vcc
	s_waitcnt vmcnt(0) lgkmcnt(0)
	v_mul_f64 v[44:45], v[158:159], v[144:145]
	v_fmac_f64_e32 v[4:5], v[26:27], v[124:125]
	v_fmac_f64_e32 v[8:9], v[30:31], v[168:169]
	;; [unrolled: 1-line block ×3, first 2 shown]
	global_load_dwordx4 v[146:149], v[40:41], off offset:32
	global_load_dwordx4 v[150:153], v[40:41], off offset:16
	;; [unrolled: 1-line block ×4, first 2 shown]
	v_fmac_f64_e32 v[44:45], v[34:35], v[160:161]
	v_add_f64 v[12:13], v[4:5], -v[8:9]
	v_add_f64 v[36:37], v[16:17], -v[44:45]
	v_add_f64 v[12:13], v[12:13], v[36:37]
	v_mul_f64 v[36:37], v[168:169], v[140:141]
	v_mul_f64 v[48:49], v[124:125], v[132:133]
	v_fma_f64 v[30:31], v[30:31], v[166:167], -v[36:37]
	v_mul_f64 v[36:37], v[160:161], v[144:145]
	v_fma_f64 v[26:27], v[26:27], v[122:123], -v[48:49]
	;; [unrolled: 2-line block ×3, first 2 shown]
	v_add_f64 v[36:37], v[8:9], v[44:45]
	v_fma_f64 v[22:23], v[22:23], v[116:117], -v[48:49]
	v_fma_f64 v[36:37], -0.5, v[36:37], v[114:115]
	v_add_f64 v[48:49], v[26:27], -v[22:23]
	v_add_f64 v[34:35], v[30:31], -v[40:41]
	v_fma_f64 v[116:117], s[10:11], v[48:49], v[36:37]
	v_fmac_f64_e32 v[36:37], s[6:7], v[48:49]
	v_fmac_f64_e32 v[116:117], s[2:3], v[34:35]
	;; [unrolled: 1-line block ×5, first 2 shown]
	v_add_f64 v[12:13], v[8:9], -v[4:5]
	v_add_f64 v[84:85], v[44:45], -v[16:17]
	v_add_f64 v[12:13], v[12:13], v[84:85]
	v_add_f64 v[84:85], v[4:5], v[16:17]
	v_fma_f64 v[124:125], -0.5, v[84:85], v[114:115]
	v_fma_f64 v[120:121], s[6:7], v[34:35], v[124:125]
	v_fmac_f64_e32 v[124:125], s[10:11], v[34:35]
	v_fmac_f64_e32 v[120:121], s[2:3], v[48:49]
	;; [unrolled: 1-line block ×5, first 2 shown]
	v_add_f64 v[12:13], v[8:9], v[114:115]
	v_add_f64 v[12:13], v[4:5], v[12:13]
	;; [unrolled: 1-line block ×4, first 2 shown]
	v_add_f64 v[12:13], v[26:27], -v[30:31]
	v_add_f64 v[34:35], v[22:23], -v[40:41]
	v_add_f64 v[12:13], v[12:13], v[34:35]
	v_add_f64 v[34:35], v[30:31], v[40:41]
	v_fma_f64 v[34:35], -0.5, v[34:35], v[126:127]
	v_add_f64 v[4:5], v[4:5], -v[16:17]
	v_fma_f64 v[114:115], s[6:7], v[4:5], v[34:35]
	v_add_f64 v[8:9], v[8:9], -v[44:45]
	v_fmac_f64_e32 v[34:35], s[10:11], v[4:5]
	v_fmac_f64_e32 v[114:115], s[12:13], v[8:9]
	;; [unrolled: 1-line block ×5, first 2 shown]
	v_add_f64 v[12:13], v[30:31], -v[26:27]
	v_add_f64 v[16:17], v[40:41], -v[22:23]
	v_add_f64 v[12:13], v[12:13], v[16:17]
	v_add_f64 v[16:17], v[26:27], v[22:23]
	v_fma_f64 v[122:123], -0.5, v[16:17], v[126:127]
	v_fma_f64 v[118:119], s[10:11], v[8:9], v[122:123]
	v_fmac_f64_e32 v[122:123], s[6:7], v[8:9]
	v_lshlrev_b32_e32 v154, 2, v164
	v_fmac_f64_e32 v[118:119], s[12:13], v[4:5]
	v_fmac_f64_e32 v[122:123], s[2:3], v[4:5]
	v_lshl_add_u64 v[8:9], v[154:155], 4, s[4:5]
	v_fmac_f64_e32 v[118:119], s[8:9], v[12:13]
	v_fmac_f64_e32 v[122:123], s[8:9], v[12:13]
	v_lshl_add_u64 v[12:13], v[8:9], 0, s[0:1]
	v_add_co_u32_e32 v8, vcc, s17, v8
	global_load_dwordx4 v[156:159], v[12:13], off offset:32
	global_load_dwordx4 v[166:169], v[12:13], off offset:16
	v_addc_co_u32_e32 v9, vcc, 0, v9, vcc
	global_load_dwordx4 v[182:185], v[8:9], off offset:3760
	global_load_dwordx4 v[186:189], v[12:13], off offset:48
	v_add_f64 v[4:5], v[126:127], v[30:31]
	v_add_f64 v[4:5], v[26:27], v[4:5]
	;; [unrolled: 1-line block ×4, first 2 shown]
	s_mov_b32 s0, 0x8000
	s_waitcnt vmcnt(7)
	v_mul_f64 v[16:17], v[146:147], v[134:135]
	s_waitcnt vmcnt(6)
	v_mul_f64 v[8:9], v[150:151], v[130:131]
	;; [unrolled: 2-line block ×4, first 2 shown]
	v_fmac_f64_e32 v[8:9], v[24:25], v[152:153]
	v_fmac_f64_e32 v[12:13], v[28:29], v[172:173]
	;; [unrolled: 1-line block ×4, first 2 shown]
	v_add_f64 v[4:5], v[8:9], -v[12:13]
	v_add_f64 v[22:23], v[16:17], -v[40:41]
	v_add_f64 v[4:5], v[4:5], v[22:23]
	v_mul_f64 v[22:23], v[172:173], v[138:139]
	ds_read2_b64 v[136:139], v165 offset1:125
	v_fma_f64 v[44:45], v[28:29], v[170:171], -v[22:23]
	v_mul_f64 v[22:23], v[180:181], v[142:143]
	v_fma_f64 v[32:33], v[32:33], v[178:179], -v[22:23]
	v_add_f64 v[22:23], v[12:13], v[40:41]
	s_waitcnt lgkmcnt(0)
	v_fma_f64 v[30:31], -0.5, v[22:23], v[138:139]
	v_mul_f64 v[22:23], v[152:153], v[130:131]
	v_fma_f64 v[48:49], v[24:25], v[150:151], -v[22:23]
	v_mul_f64 v[22:23], v[148:149], v[134:135]
	v_fma_f64 v[84:85], v[20:21], v[146:147], -v[22:23]
	v_add_f64 v[20:21], v[48:49], -v[84:85]
	v_add_f64 v[28:29], v[44:45], -v[32:33]
	v_fma_f64 v[22:23], s[10:11], v[20:21], v[30:31]
	v_fmac_f64_e32 v[30:31], s[6:7], v[20:21]
	v_fmac_f64_e32 v[22:23], s[2:3], v[28:29]
	;; [unrolled: 1-line block ×5, first 2 shown]
	v_add_f64 v[4:5], v[12:13], -v[8:9]
	v_add_f64 v[24:25], v[40:41], -v[16:17]
	v_add_f64 v[4:5], v[4:5], v[24:25]
	v_add_f64 v[24:25], v[8:9], v[16:17]
	v_fma_f64 v[132:133], -0.5, v[24:25], v[138:139]
	v_fma_f64 v[26:27], s[6:7], v[28:29], v[132:133]
	v_fmac_f64_e32 v[132:133], s[10:11], v[28:29]
	v_fmac_f64_e32 v[26:27], s[2:3], v[20:21]
	;; [unrolled: 1-line block ×3, first 2 shown]
	v_add_f64 v[20:21], v[48:49], -v[44:45]
	v_add_f64 v[24:25], v[84:85], -v[32:33]
	v_fmac_f64_e32 v[26:27], s[8:9], v[4:5]
	v_fmac_f64_e32 v[132:133], s[8:9], v[4:5]
	v_add_f64 v[4:5], v[12:13], v[138:139]
	v_add_f64 v[24:25], v[20:21], v[24:25]
	;; [unrolled: 1-line block ×4, first 2 shown]
	v_fma_f64 v[28:29], -0.5, v[20:21], v[2:3]
	v_add_f64 v[8:9], v[8:9], -v[16:17]
	v_fma_f64 v[20:21], s[6:7], v[8:9], v[28:29]
	v_add_f64 v[12:13], v[12:13], -v[40:41]
	v_fmac_f64_e32 v[28:29], s[10:11], v[8:9]
	v_fmac_f64_e32 v[20:21], s[12:13], v[12:13]
	;; [unrolled: 1-line block ×3, first 2 shown]
	v_add_f64 v[4:5], v[16:17], v[4:5]
	v_fmac_f64_e32 v[20:21], s[8:9], v[24:25]
	v_fmac_f64_e32 v[28:29], s[8:9], v[24:25]
	v_add_f64 v[16:17], v[44:45], -v[48:49]
	v_add_f64 v[24:25], v[32:33], -v[84:85]
	v_add_f64 v[16:17], v[16:17], v[24:25]
	v_add_f64 v[24:25], v[48:49], v[84:85]
	v_fma_f64 v[130:131], -0.5, v[24:25], v[2:3]
	v_add_f64 v[2:3], v[2:3], v[44:45]
	v_add_f64 v[2:3], v[48:49], v[2:3]
	;; [unrolled: 1-line block ×4, first 2 shown]
	v_fma_f64 v[24:25], s[10:11], v[12:13], v[130:131]
	v_fmac_f64_e32 v[130:131], s[6:7], v[12:13]
	v_fmac_f64_e32 v[24:25], s[12:13], v[8:9]
	s_waitcnt vmcnt(3)
	v_mul_f64 v[84:85], v[156:157], v[38:39]
	s_waitcnt vmcnt(2)
	v_mul_f64 v[32:33], v[166:167], v[42:43]
	v_fmac_f64_e32 v[32:33], v[10:11], v[168:169]
	v_fmac_f64_e32 v[84:85], v[6:7], v[158:159]
	s_waitcnt vmcnt(1)
	v_mul_f64 v[48:49], v[182:183], v[50:51]
	s_waitcnt vmcnt(0)
	v_mul_f64 v[134:135], v[186:187], v[46:47]
	v_fmac_f64_e32 v[48:49], v[14:15], v[184:185]
	v_fmac_f64_e32 v[134:135], v[18:19], v[188:189]
	;; [unrolled: 1-line block ×3, first 2 shown]
	v_add_f64 v[8:9], v[32:33], -v[48:49]
	v_add_f64 v[12:13], v[84:85], -v[134:135]
	v_fmac_f64_e32 v[24:25], s[8:9], v[16:17]
	v_fmac_f64_e32 v[130:131], s[8:9], v[16:17]
	v_add_f64 v[16:17], v[8:9], v[12:13]
	v_mul_f64 v[8:9], v[184:185], v[50:51]
	v_mul_f64 v[12:13], v[168:169], v[42:43]
	v_fma_f64 v[50:51], v[14:15], v[182:183], -v[8:9]
	v_mul_f64 v[8:9], v[188:189], v[46:47]
	v_fma_f64 v[42:43], v[10:11], v[166:167], -v[12:13]
	;; [unrolled: 2-line block ×3, first 2 shown]
	v_add_f64 v[8:9], v[48:49], v[134:135]
	v_fma_f64 v[46:47], v[6:7], v[156:157], -v[10:11]
	v_fma_f64 v[8:9], -0.5, v[8:9], v[136:137]
	v_add_f64 v[6:7], v[42:43], -v[46:47]
	v_add_f64 v[14:15], v[50:51], -v[18:19]
	v_fma_f64 v[12:13], s[10:11], v[6:7], v[8:9]
	v_fmac_f64_e32 v[8:9], s[6:7], v[6:7]
	v_fmac_f64_e32 v[12:13], s[2:3], v[14:15]
	;; [unrolled: 1-line block ×5, first 2 shown]
	v_add_f64 v[10:11], v[48:49], -v[32:33]
	v_add_f64 v[16:17], v[134:135], -v[84:85]
	v_add_f64 v[10:11], v[10:11], v[16:17]
	v_add_f64 v[16:17], v[32:33], v[84:85]
	v_fma_f64 v[16:17], -0.5, v[16:17], v[136:137]
	v_add_f64 v[4:5], v[40:41], v[4:5]
	v_fma_f64 v[40:41], s[6:7], v[14:15], v[16:17]
	v_fmac_f64_e32 v[16:17], s[10:11], v[14:15]
	v_fmac_f64_e32 v[40:41], s[2:3], v[6:7]
	;; [unrolled: 1-line block ×3, first 2 shown]
	v_add_f64 v[6:7], v[48:49], v[136:137]
	v_add_f64 v[6:7], v[32:33], v[6:7]
	;; [unrolled: 1-line block ×3, first 2 shown]
	v_fmac_f64_e32 v[40:41], s[8:9], v[10:11]
	v_fmac_f64_e32 v[16:17], s[8:9], v[10:11]
	v_add_f64 v[44:45], v[134:135], v[6:7]
	v_add_f64 v[6:7], v[42:43], -v[50:51]
	v_add_f64 v[10:11], v[46:47], -v[18:19]
	v_add_f64 v[14:15], v[6:7], v[10:11]
	v_add_f64 v[6:7], v[50:51], v[18:19]
	v_fma_f64 v[6:7], -0.5, v[6:7], v[0:1]
	v_add_f64 v[32:33], v[32:33], -v[84:85]
	v_fma_f64 v[10:11], s[6:7], v[32:33], v[6:7]
	v_add_f64 v[48:49], v[48:49], -v[134:135]
	v_fmac_f64_e32 v[6:7], s[10:11], v[32:33]
	v_fmac_f64_e32 v[10:11], s[12:13], v[48:49]
	;; [unrolled: 1-line block ×5, first 2 shown]
	v_add_f64 v[14:15], v[50:51], -v[42:43]
	v_add_f64 v[38:39], v[18:19], -v[46:47]
	v_add_f64 v[84:85], v[14:15], v[38:39]
	v_add_f64 v[14:15], v[42:43], v[46:47]
	v_fma_f64 v[14:15], -0.5, v[14:15], v[0:1]
	v_fma_f64 v[38:39], s[10:11], v[48:49], v[14:15]
	v_fmac_f64_e32 v[14:15], s[6:7], v[48:49]
	v_add_f64 v[0:1], v[0:1], v[50:51]
	v_fmac_f64_e32 v[38:39], s[12:13], v[32:33]
	v_fmac_f64_e32 v[14:15], s[2:3], v[32:33]
	v_add_f64 v[0:1], v[42:43], v[0:1]
	v_accvgpr_read_b32 v33, a1
	v_add_f64 v[0:1], v[0:1], v[46:47]
	v_mov_b32_e32 v165, v155
	v_accvgpr_read_b32 v32, a0
	v_add_f64 v[42:43], v[0:1], v[18:19]
	v_lshl_add_u64 v[0:1], v[164:165], 4, v[32:33]
	v_add_co_u32_e32 v18, vcc, s17, v0
	v_fmac_f64_e32 v[14:15], s[8:9], v[84:85]
	s_nop 0
	v_addc_co_u32_e32 v19, vcc, 0, v1, vcc
	global_store_dwordx4 v[18:19], v[14:17], off offset:3808
	s_mov_b32 s1, 0xb000
	v_fmac_f64_e32 v[38:39], s[8:9], v[84:85]
	v_add_co_u32_e32 v14, vcc, s16, v0
	global_store_dwordx4 v[0:1], v[42:45], off
	s_nop 0
	v_addc_co_u32_e32 v15, vcc, 0, v1, vcc
	global_store_dwordx4 v[14:15], v[6:9], off offset:3520
	s_mov_b32 s2, 0x9000
	s_nop 0
	v_add_co_u32_e32 v6, vcc, s0, v0
	s_nop 1
	v_addc_co_u32_e32 v7, vcc, 0, v1, vcc
	global_store_dwordx4 v[6:7], v[10:13], off offset:3232
	v_add_co_u32_e32 v6, vcc, s1, v0
	s_nop 1
	v_addc_co_u32_e32 v7, vcc, 0, v1, vcc
	global_store_dwordx4 v[6:7], v[38:41], off offset:2944
	global_store_dwordx4 v[0:1], v[2:5], off offset:2000
	s_nop 1
	v_add_co_u32_e32 v2, vcc, s22, v0
	s_nop 1
	v_addc_co_u32_e32 v3, vcc, 0, v1, vcc
	v_add_co_u32_e32 v4, vcc, s21, v0
	global_store_dwordx4 v[2:3], v[130:133], off offset:1712
	s_nop 0
	v_addc_co_u32_e32 v5, vcc, 0, v1, vcc
	v_add_co_u32_e32 v6, vcc, s2, v0
	s_mov_b32 s2, 0xc000
	s_nop 0
	v_addc_co_u32_e32 v7, vcc, 0, v1, vcc
	v_add_co_u32_e32 v8, vcc, s2, v0
	global_store_dwordx4 v[4:5], v[28:31], off offset:1424
	s_nop 0
	v_addc_co_u32_e32 v9, vcc, 0, v1, vcc
	global_store_dwordx4 v[6:7], v[20:23], off offset:1136
	global_store_dwordx4 v[8:9], v[24:27], off offset:848
	;; [unrolled: 1-line block ×7, first 2 shown]
	v_add_co_u32_e32 v2, vcc, s20, v0
	s_movk_i32 s2, 0x7000
	s_nop 0
	v_addc_co_u32_e32 v3, vcc, 0, v1, vcc
	global_store_dwordx4 v[2:3], v[110:113], off offset:1904
	v_add_co_u32_e32 v2, vcc, s19, v0
	s_nop 1
	v_addc_co_u32_e32 v3, vcc, 0, v1, vcc
	global_store_dwordx4 v[2:3], v[106:109], off offset:1616
	v_add_co_u32_e32 v2, vcc, s2, v0
	s_mov_b32 s2, 0xa000
	s_nop 0
	v_addc_co_u32_e32 v3, vcc, 0, v1, vcc
	global_store_dwordx4 v[2:3], v[80:83], off offset:1328
	v_add_co_u32_e32 v2, vcc, s2, v0
	s_mov_b32 s2, 0xd000
	s_nop 0
	v_addc_co_u32_e32 v3, vcc, 0, v1, vcc
	v_add_co_u32_e32 v0, vcc, s2, v0
	s_mov_b32 s2, 0x57619f1
	s_nop 0
	v_addc_co_u32_e32 v1, vcc, 0, v1, vcc
	global_store_dwordx4 v[0:1], v[76:79], off offset:752
	v_mul_hi_u32 v0, v176, s2
	v_lshrrev_b32_e32 v0, 4, v0
	v_mad_u32_u24 v154, v0, s18, v176
	v_lshl_add_u64 v[0:1], v[154:155], 4, v[32:33]
	global_store_dwordx4 v[2:3], v[72:75], off offset:1040
	v_add_co_u32_e32 v2, vcc, s17, v0
	global_store_dwordx4 v[0:1], v[102:105], off
	s_nop 0
	v_addc_co_u32_e32 v3, vcc, 0, v1, vcc
	global_store_dwordx4 v[2:3], v[98:101], off offset:3808
	v_add_co_u32_e32 v2, vcc, s16, v0
	s_nop 1
	v_addc_co_u32_e32 v3, vcc, 0, v1, vcc
	global_store_dwordx4 v[2:3], v[94:97], off offset:3520
	v_add_co_u32_e32 v2, vcc, s0, v0
	s_nop 1
	v_addc_co_u32_e32 v3, vcc, 0, v1, vcc
	v_add_co_u32_e32 v0, vcc, s1, v0
	global_store_dwordx4 v[2:3], v[86:89], off offset:3232
	s_nop 0
	v_addc_co_u32_e32 v1, vcc, 0, v1, vcc
	global_store_dwordx4 v[0:1], v[90:93], off offset:2944
	v_mul_hi_u32 v0, v177, s2
	v_lshrrev_b32_e32 v0, 4, v0
	v_mad_u32_u24 v154, v0, s18, v177
	v_lshl_add_u64 v[0:1], v[154:155], 4, v[32:33]
	v_add_co_u32_e32 v2, vcc, s17, v0
	global_store_dwordx4 v[0:1], v[68:71], off
	s_nop 0
	v_addc_co_u32_e32 v3, vcc, 0, v1, vcc
	global_store_dwordx4 v[2:3], v[64:67], off offset:3808
	v_add_co_u32_e32 v2, vcc, s16, v0
	s_nop 1
	v_addc_co_u32_e32 v3, vcc, 0, v1, vcc
	global_store_dwordx4 v[2:3], v[60:63], off offset:3520
	v_add_co_u32_e32 v2, vcc, 0x8000, v0
	s_nop 1
	v_addc_co_u32_e32 v3, vcc, 0, v1, vcc
	v_add_co_u32_e32 v0, vcc, 0xb000, v0
	global_store_dwordx4 v[2:3], v[56:59], off offset:3232
	s_nop 0
	v_addc_co_u32_e32 v1, vcc, 0, v1, vcc
	global_store_dwordx4 v[0:1], v[52:55], off offset:2944
.LBB0_13:
	s_endpgm
	.section	.rodata,"a",@progbits
	.p2align	6, 0x0
	.amdhsa_kernel fft_rtc_fwd_len3750_factors_3_5_5_10_5_wgs_125_tpt_125_halfLds_dp_ip_CI_unitstride_sbrr_dirReg
		.amdhsa_group_segment_fixed_size 0
		.amdhsa_private_segment_fixed_size 0
		.amdhsa_kernarg_size 88
		.amdhsa_user_sgpr_count 2
		.amdhsa_user_sgpr_dispatch_ptr 0
		.amdhsa_user_sgpr_queue_ptr 0
		.amdhsa_user_sgpr_kernarg_segment_ptr 1
		.amdhsa_user_sgpr_dispatch_id 0
		.amdhsa_user_sgpr_kernarg_preload_length 0
		.amdhsa_user_sgpr_kernarg_preload_offset 0
		.amdhsa_user_sgpr_private_segment_size 0
		.amdhsa_uses_dynamic_stack 0
		.amdhsa_enable_private_segment 0
		.amdhsa_system_sgpr_workgroup_id_x 1
		.amdhsa_system_sgpr_workgroup_id_y 0
		.amdhsa_system_sgpr_workgroup_id_z 0
		.amdhsa_system_sgpr_workgroup_info 0
		.amdhsa_system_vgpr_workitem_id 0
		.amdhsa_next_free_vgpr 258
		.amdhsa_next_free_sgpr 23
		.amdhsa_accum_offset 256
		.amdhsa_reserve_vcc 1
		.amdhsa_float_round_mode_32 0
		.amdhsa_float_round_mode_16_64 0
		.amdhsa_float_denorm_mode_32 3
		.amdhsa_float_denorm_mode_16_64 3
		.amdhsa_dx10_clamp 1
		.amdhsa_ieee_mode 1
		.amdhsa_fp16_overflow 0
		.amdhsa_tg_split 0
		.amdhsa_exception_fp_ieee_invalid_op 0
		.amdhsa_exception_fp_denorm_src 0
		.amdhsa_exception_fp_ieee_div_zero 0
		.amdhsa_exception_fp_ieee_overflow 0
		.amdhsa_exception_fp_ieee_underflow 0
		.amdhsa_exception_fp_ieee_inexact 0
		.amdhsa_exception_int_div_zero 0
	.end_amdhsa_kernel
	.text
.Lfunc_end0:
	.size	fft_rtc_fwd_len3750_factors_3_5_5_10_5_wgs_125_tpt_125_halfLds_dp_ip_CI_unitstride_sbrr_dirReg, .Lfunc_end0-fft_rtc_fwd_len3750_factors_3_5_5_10_5_wgs_125_tpt_125_halfLds_dp_ip_CI_unitstride_sbrr_dirReg
                                        ; -- End function
	.section	.AMDGPU.csdata,"",@progbits
; Kernel info:
; codeLenInByte = 20656
; NumSgprs: 29
; NumVgprs: 256
; NumAgprs: 2
; TotalNumVgprs: 258
; ScratchSize: 0
; MemoryBound: 1
; FloatMode: 240
; IeeeMode: 1
; LDSByteSize: 0 bytes/workgroup (compile time only)
; SGPRBlocks: 3
; VGPRBlocks: 32
; NumSGPRsForWavesPerEU: 29
; NumVGPRsForWavesPerEU: 258
; AccumOffset: 256
; Occupancy: 1
; WaveLimiterHint : 1
; COMPUTE_PGM_RSRC2:SCRATCH_EN: 0
; COMPUTE_PGM_RSRC2:USER_SGPR: 2
; COMPUTE_PGM_RSRC2:TRAP_HANDLER: 0
; COMPUTE_PGM_RSRC2:TGID_X_EN: 1
; COMPUTE_PGM_RSRC2:TGID_Y_EN: 0
; COMPUTE_PGM_RSRC2:TGID_Z_EN: 0
; COMPUTE_PGM_RSRC2:TIDIG_COMP_CNT: 0
; COMPUTE_PGM_RSRC3_GFX90A:ACCUM_OFFSET: 63
; COMPUTE_PGM_RSRC3_GFX90A:TG_SPLIT: 0
	.text
	.p2alignl 6, 3212836864
	.fill 256, 4, 3212836864
	.type	__hip_cuid_659eff05dd24621f,@object ; @__hip_cuid_659eff05dd24621f
	.section	.bss,"aw",@nobits
	.globl	__hip_cuid_659eff05dd24621f
__hip_cuid_659eff05dd24621f:
	.byte	0                               ; 0x0
	.size	__hip_cuid_659eff05dd24621f, 1

	.ident	"AMD clang version 19.0.0git (https://github.com/RadeonOpenCompute/llvm-project roc-6.4.0 25133 c7fe45cf4b819c5991fe208aaa96edf142730f1d)"
	.section	".note.GNU-stack","",@progbits
	.addrsig
	.addrsig_sym __hip_cuid_659eff05dd24621f
	.amdgpu_metadata
---
amdhsa.kernels:
  - .agpr_count:     2
    .args:
      - .actual_access:  read_only
        .address_space:  global
        .offset:         0
        .size:           8
        .value_kind:     global_buffer
      - .offset:         8
        .size:           8
        .value_kind:     by_value
      - .actual_access:  read_only
        .address_space:  global
        .offset:         16
        .size:           8
        .value_kind:     global_buffer
      - .actual_access:  read_only
        .address_space:  global
        .offset:         24
        .size:           8
        .value_kind:     global_buffer
      - .offset:         32
        .size:           8
        .value_kind:     by_value
      - .actual_access:  read_only
        .address_space:  global
        .offset:         40
        .size:           8
        .value_kind:     global_buffer
      - .actual_access:  read_only
        .address_space:  global
        .offset:         48
        .size:           8
        .value_kind:     global_buffer
      - .offset:         56
        .size:           4
        .value_kind:     by_value
      - .actual_access:  read_only
        .address_space:  global
        .offset:         64
        .size:           8
        .value_kind:     global_buffer
      - .actual_access:  read_only
        .address_space:  global
        .offset:         72
        .size:           8
        .value_kind:     global_buffer
      - .address_space:  global
        .offset:         80
        .size:           8
        .value_kind:     global_buffer
    .group_segment_fixed_size: 0
    .kernarg_segment_align: 8
    .kernarg_segment_size: 88
    .language:       OpenCL C
    .language_version:
      - 2
      - 0
    .max_flat_workgroup_size: 125
    .name:           fft_rtc_fwd_len3750_factors_3_5_5_10_5_wgs_125_tpt_125_halfLds_dp_ip_CI_unitstride_sbrr_dirReg
    .private_segment_fixed_size: 0
    .sgpr_count:     29
    .sgpr_spill_count: 0
    .symbol:         fft_rtc_fwd_len3750_factors_3_5_5_10_5_wgs_125_tpt_125_halfLds_dp_ip_CI_unitstride_sbrr_dirReg.kd
    .uniform_work_group_size: 1
    .uses_dynamic_stack: false
    .vgpr_count:     258
    .vgpr_spill_count: 0
    .wavefront_size: 64
amdhsa.target:   amdgcn-amd-amdhsa--gfx950
amdhsa.version:
  - 1
  - 2
...

	.end_amdgpu_metadata
